;; amdgpu-corpus repo=ROCm/aiter kind=harvested arch=n/a opt=n/a

/root/src/amdgpu-assembly/repos/ROCm__aiter/hsa/gfx942/pa/pa_bf16_perblockFp8_blk256_1tg_4w_qlen40_msk1_ps.co:	file format elf64-amdgpu

Disassembly of section .text:

0000000000002600 <_ZN5aiter44PA_A16W8_BLK256_1TG_4W_40mx1_64nx4_MTP_PS_PBE>:
	s_and_b32 s1, s1, 0xffff                                   // 000000002600: 8601FF01 0000FFFF
	s_load_dwordx2 s[4:5], s[0:1], 0x0                         // 000000002608: C0060100 00000000
	s_load_dwordx2 s[8:9], s[0:1], 0x10                        // 000000002610: C0060200 00000010
	s_load_dwordx2 s[12:13], s[0:1], 0x20                      // 000000002618: C0060300 00000020
	s_load_dwordx2 s[16:17], s[0:1], 0x30                      // 000000002620: C0060400 00000030
	s_load_dwordx2 s[42:43], s[0:1], 0x40                      // 000000002628: C0060A80 00000040
	s_load_dwordx2 s[40:41], s[0:1], 0x50                      // 000000002630: C0060A00 00000050
	s_load_dwordx2 s[20:21], s[0:1], 0x60                      // 000000002638: C0060500 00000060
	s_load_dwordx2 s[24:25], s[0:1], 0x70                      // 000000002640: C0060600 00000070
	s_load_dword s46, s[0:1], 0x80                             // 000000002648: C0020B80 00000080
	s_load_dword s48, s[0:1], 0x90                             // 000000002650: C0020C00 00000090
	s_load_dword s49, s[0:1], 0xa0                             // 000000002658: C0020C40 000000A0
	s_load_dword s50, s[0:1], 0xb0                             // 000000002660: C0020C80 000000B0
	s_load_dword s51, s[0:1], 0xc0                             // 000000002668: C0020CC0 000000C0
	s_load_dword s52, s[0:1], 0xd0                             // 000000002670: C0020D00 000000D0
	s_load_dword s53, s[0:1], 0xe0                             // 000000002678: C0020D40 000000E0
	s_load_dwordx2 s[44:45], s[0:1], 0x100                     // 000000002680: C0060B00 00000100
	s_load_dwordx2 s[36:37], s[0:1], 0x110                     // 000000002688: C0060900 00000110
	s_load_dwordx2 s[38:39], s[0:1], 0x120                     // 000000002690: C0060980 00000120
	s_load_dwordx2 s[28:29], s[0:1], 0x130                     // 000000002698: C0060700 00000130
	s_load_dwordx2 s[32:33], s[0:1], 0x140                     // 0000000026A0: C0060800 00000140
	v_lshrrev_b32_e32 v1, 10, v0                               // 0000000026A8: 2002008A
	v_lshrrev_b32_e32 v2, 10, v1                               // 0000000026AC: 2004028A
	v_and_b32_e32 v2, 0x3ff, v2                                // 0000000026B0: 260404FF 000003FF
	v_and_b32_e32 v1, 0x3ff, v1                                // 0000000026B8: 260202FF 000003FF
	v_and_b32_e32 v0, 0x3ff, v0                                // 0000000026C0: 260000FF 000003FF
	v_lshrrev_b32_e32 v3, 6, v0                                // 0000000026C8: 20060086
	v_and_b32_e32 v0, 63, v0                                   // 0000000026CC: 260000BF
	s_mov_b32 s58, s2                                          // 0000000026D0: BEBA0002
	v_readfirstlane_b32 s57, v3                                // 0000000026D4: 7E720503
	s_mov_b32 s56, 0x7060302                                   // 0000000026D8: BEB800FF 07060302
	v_mov_b32_e32 v216, 0xffff0000                             // 0000000026E0: 7FB002FF FFFF0000
	v_mov_b32_e32 v217, 0x7fff0000                             // 0000000026E8: 7FB202FF 7FFF0000
	v_mov_b32_e32 v218, 0x7fff                                 // 0000000026F0: 7FB402FF 00007FFF
	s_cmp_lt_u32 s57, 2                                        // 0000000026F8: BF0A8239
	s_cselect_b32 s100, -1, 0                                  // 0000000026FC: 856480C1
	s_mov_b32 s0, 0xff00ff00                                   // 000000002700: BE8000FF FF00FF00
	s_mov_b32 s1, 0xff00ff00                                   // 000000002708: BE8100FF FF00FF00
	v_mov_b32_e32 v224, -1                                     // 000000002710: 7FC002C1
	v_mov_b32_dpp v224, v224 row_shl:8 row_mask:0xf bank_mask:0xf bound_ctrl:1// 000000002714: 7FC002FA FF0908E0
	v_mov_b32_e32 v225, 0xff800000                             // 00000000271C: 7FC202FF FF800000
	v_lshrrev_b32_e32 v168, 4, v0                              // 000000002724: 21500084
	v_and_b32_e32 v169, 15, v0                                 // 000000002728: 2752008F
	v_add_u32_e32 v170, 1, v168                                // 00000000272C: 69555081
	v_and_b32_e32 v212, 3, v170                                // 000000002730: 27A95483
	v_lshlrev_b32_e32 v212, 4, v212                            // 000000002734: 25A9A884
	v_add_u32_e32 v212, v169, v212                             // 000000002738: 69A9A9A9
	v_lshlrev_b32_e32 v212, 2, v212                            // 00000000273C: 25A9A882
	v_add_u32_e32 v170, 2, v168                                // 000000002740: 69555082
	v_and_b32_e32 v213, 3, v170                                // 000000002744: 27AB5483
	v_lshlrev_b32_e32 v213, 4, v213                            // 000000002748: 25ABAA84
	v_add_u32_e32 v213, v169, v213                             // 00000000274C: 69ABABA9
	v_lshlrev_b32_e32 v213, 2, v213                            // 000000002750: 25ABAA82
	v_add_u32_e32 v170, 3, v168                                // 000000002754: 69555083
	v_and_b32_e32 v214, 3, v170                                // 000000002758: 27AD5483
	v_lshlrev_b32_e32 v214, 4, v214                            // 00000000275C: 25ADAC84
	v_add_u32_e32 v214, v169, v214                             // 000000002760: 69ADADA9
	v_lshlrev_b32_e32 v214, 2, v214                            // 000000002764: 25ADAC82
	s_waitcnt lgkmcnt(0)                                       // 000000002768: BF8CC07F
	s_lshl_b32 s54, s58, 2                                     // 00000000276C: 8E36823A
	s_and_b32 s37, s37, 0xffff                                 // 000000002770: 8625FF25 0000FFFF
	s_load_dwordx2 s[80:81], s[36:37], s54                     // 000000002778: C0041412 00000036
	s_mul_i32 s54, s53, 0x100                                  // 000000002780: 9236FF35 00000100
	s_mul_i32 s67, s48, s54                                    // 000000002788: 92433630
	s_mul_i32 s66, s48, 4                                      // 00000000278C: 92428430
	s_mov_b32 s47, s46                                         // 000000002790: BEAF002E
	s_mov_b32 s10, 0x80000000                                  // 000000002794: BE8A00FF 80000000
	s_mov_b32 s11, 0x20000                                     // 00000000279C: BE8B00FF 00020000
	s_and_b32 s9, s9, 0xffff                                   // 0000000027A4: 8609FF09 0000FFFF
	s_or_b32 s9, s9, 0                                         // 0000000027AC: 87098009
	s_mov_b32 s84, s8                                          // 0000000027B0: BED40008
	s_mov_b32 s85, s9                                          // 0000000027B4: BED50009
	s_mov_b32 s6, 0x80000000                                   // 0000000027B8: BE8600FF 80000000
	s_mov_b32 s7, 0x20000                                      // 0000000027C0: BE8700FF 00020000
	s_and_b32 s5, s5, 0xffff                                   // 0000000027C8: 8605FF05 0000FFFF
	s_or_b32 s5, s5, 0                                         // 0000000027D0: 87058005
	s_mov_b32 s82, s4                                          // 0000000027D4: BED20004
	s_mov_b32 s83, s5                                          // 0000000027D8: BED30005
	s_mov_b32 s30, 0x80000000                                  // 0000000027DC: BE9E00FF 80000000
	s_mov_b32 s31, 0x20000                                     // 0000000027E4: BE9F00FF 00020000
	s_and_b32 s29, s29, 0xffff                                 // 0000000027EC: 861DFF1D 0000FFFF
	s_or_b32 s29, s29, 0                                       // 0000000027F4: 871D801D
	s_mov_b32 s94, s28                                         // 0000000027F8: BEDE001C
	s_mov_b32 s95, s29                                         // 0000000027FC: BEDF001D
	s_mov_b32 s34, 0x80000000                                  // 000000002800: BEA200FF 80000000
	s_mov_b32 s35, 0x20000                                     // 000000002808: BEA300FF 00020000
	s_and_b32 s33, s33, 0xffff                                 // 000000002810: 8621FF21 0000FFFF
	s_or_b32 s33, s33, 0                                       // 000000002818: 87218021
	s_mov_b32 s96, s32                                         // 00000000281C: BEE00020
	s_mov_b32 s97, s33                                         // 000000002820: BEE10021
	s_mov_b32 s14, 0x80000000                                  // 000000002824: BE8E00FF 80000000
	s_mov_b32 s15, 0x20000                                     // 00000000282C: BE8F00FF 00020000
	s_and_b32 s13, s13, 0xffff                                 // 000000002834: 860DFF0D 0000FFFF
	s_or_b32 s13, s13, 0                                       // 00000000283C: 870D800D
	s_mul_i32 s55, s57, 0x100                                  // 000000002840: 9237FF39 00000100
	s_add_u32 s86, s12, s55                                    // 000000002848: 8056370C
	s_addc_u32 s87, s13, 0                                     // 00000000284C: 8257800D
	s_mov_b32 s18, 0x80000000                                  // 000000002850: BE9200FF 80000000
	s_mov_b32 s19, 0x20000                                     // 000000002858: BE9300FF 00020000
	s_and_b32 s17, s17, 0xffff                                 // 000000002860: 8611FF11 0000FFFF
	s_or_b32 s17, s17, 0                                       // 000000002868: 87118011
	s_add_u32 s88, s16, s55                                    // 00000000286C: 80583710
	s_addc_u32 s89, s17, 0                                     // 000000002870: 82598011
	s_mov_b32 s22, 0x80000000                                  // 000000002874: BE9600FF 80000000
	s_mov_b32 s23, 0x20000                                     // 00000000287C: BE9700FF 00020000
	s_and_b32 s21, s21, 0xffff                                 // 000000002884: 8615FF15 0000FFFF
	s_or_b32 s21, s21, 0                                       // 00000000288C: 87158015
	s_add_u32 s90, s20, 0                                      // 000000002890: 805A8014
	s_addc_u32 s91, s21, 0                                     // 000000002894: 825B8015
	s_mov_b32 s26, 0x80000000                                  // 000000002898: BE9A00FF 80000000
	s_mov_b32 s27, 0x20000                                     // 0000000028A0: BE9B00FF 00020000
	s_and_b32 s25, s25, 0xffff                                 // 0000000028A8: 8619FF19 0000FFFF
	s_or_b32 s25, s25, 0                                       // 0000000028B0: 87198019
	s_add_u32 s92, s24, 0                                      // 0000000028B4: 805C8018
	s_addc_u32 s93, s25, 0                                     // 0000000028B8: 825D8019
	s_and_b32 s39, s39, 0xffff                                 // 0000000028BC: 8627FF27 0000FFFF
	s_and_b32 s41, s41, 0xffff                                 // 0000000028C4: 8629FF29 0000FFFF
	s_and_b32 s43, s43, 0xffff                                 // 0000000028CC: 862BFF2B 0000FFFF
	s_and_b32 s45, s45, 0xffff                                 // 0000000028D4: 862DFF2D 0000FFFF
	v_and_b32_e32 v180, 15, v0                                 // 0000000028DC: 2768008F
	v_lshlrev_b32_e32 v180, 4, v180                            // 0000000028E0: 25696884
	s_lshl_b32 s54, s57, 2                                     // 0000000028E4: 8E368239
	v_lshrrev_b32_e32 v172, 4, v0                              // 0000000028E8: 21580084
	v_add_u32_e32 v172, s54, v172                              // 0000000028EC: 69595836
	v_add_u32_e32 v173, 16, v172                               // 0000000028F0: 695B5890
	v_add_u32_e32 v174, 16, v173                               // 0000000028F4: 695D5A90
	v_cvt_f32_u32_e32 v168, s53                                // 0000000028F8: 7F500C35
	v_sub_i32 v176, 0, s53                                     // 0000000028FC: D29D00B0 00006A80
	v_rcp_iflag_f32_e32 v168, v168                             // 000000002904: 7F5047A8
	s_nop 0                                                    // 000000002908: BF800000
	v_mul_f32_e32 v168, 0x4f7ffffe, v168                       // 00000000290C: 0B5150FF 4F7FFFFE
	v_cvt_u32_f32_e32 v168, v168                               // 000000002914: 7F500FA8
	v_mul_lo_u32 v169, v176, v168                              // 000000002918: D28500A9 000351B0
	v_mul_hi_u32 v169, v168, v169                              // 000000002920: D28600A9 000353A8
	v_add_u32_e32 v168, v168, v169                             // 000000002928: 695153A8
	v_mul_hi_u32 v168, v172, v168                              // 00000000292C: D28600A8 000351AC
	v_mul_lo_u32 v169, v168, s53                               // 000000002934: D28500A9 00006BA8
	v_sub_u32_e32 v171, v172, v169                             // 00000000293C: 6B5753AC
	v_add_u32_e32 v170, 1, v168                                // 000000002940: 69555081
	v_cmp_le_u32_e32 vcc, s53, v171                            // 000000002944: 7D975635
	v_subrev_u32_e32 v169, s53, v171                           // 000000002948: 6D535635
	s_nop 0                                                    // 00000000294C: BF800000
	v_cndmask_b32_e32 v168, v168, v170, vcc                    // 000000002950: 015155A8
	v_cndmask_b32_e32 v171, v171, v169, vcc                    // 000000002954: 015753AB
	v_add_u32_e32 v169, 1, v168                                // 000000002958: 69535081
	v_cmp_le_u32_e32 vcc, s53, v171                            // 00000000295C: 7D975635
	s_nop 1                                                    // 000000002960: BF800001
	v_cndmask_b32_e32 v176, v168, v169, vcc                    // 000000002964: 016153A8
	v_mul_i32_i24_e32 v170, s53, v176                          // 000000002968: 0D556035
	v_sub_u32_e32 v170, v172, v170                             // 00000000296C: 6B5555AC
	v_mul_u32_u24_e32 v170, 0x100, v170                        // 000000002970: 115554FF 00000100
	v_mul_u32_u24_e32 v226, s49, v176                          // 000000002978: 11C56031
	v_add3_u32 v226, v170, v226, v180                          // 00000000297C: D1FF00E2 06D3C5AA
	v_mul_u32_u24_e32 v229, s67, v176                          // 000000002984: 11CB6043
	v_add3_u32 v229, v170, v229, v180                          // 000000002988: D1FF00E5 06D3CBAA
	v_cvt_f32_u32_e32 v168, s53                                // 000000002990: 7F500C35
	v_sub_i32 v176, 0, s53                                     // 000000002994: D29D00B0 00006A80
	v_rcp_iflag_f32_e32 v168, v168                             // 00000000299C: 7F5047A8
	s_nop 0                                                    // 0000000029A0: BF800000
	v_mul_f32_e32 v168, 0x4f7ffffe, v168                       // 0000000029A4: 0B5150FF 4F7FFFFE
	v_cvt_u32_f32_e32 v168, v168                               // 0000000029AC: 7F500FA8
	v_mul_lo_u32 v169, v176, v168                              // 0000000029B0: D28500A9 000351B0
	v_mul_hi_u32 v169, v168, v169                              // 0000000029B8: D28600A9 000353A8
	v_add_u32_e32 v168, v168, v169                             // 0000000029C0: 695153A8
	v_mul_hi_u32 v168, v173, v168                              // 0000000029C4: D28600A8 000351AD
	v_mul_lo_u32 v169, v168, s53                               // 0000000029CC: D28500A9 00006BA8
	v_sub_u32_e32 v171, v173, v169                             // 0000000029D4: 6B5753AD
	v_add_u32_e32 v170, 1, v168                                // 0000000029D8: 69555081
	v_cmp_le_u32_e32 vcc, s53, v171                            // 0000000029DC: 7D975635
	v_subrev_u32_e32 v169, s53, v171                           // 0000000029E0: 6D535635
	s_nop 0                                                    // 0000000029E4: BF800000
	v_cndmask_b32_e32 v168, v168, v170, vcc                    // 0000000029E8: 015155A8
	v_cndmask_b32_e32 v171, v171, v169, vcc                    // 0000000029EC: 015753AB
	v_add_u32_e32 v169, 1, v168                                // 0000000029F0: 69535081
	v_cmp_le_u32_e32 vcc, s53, v171                            // 0000000029F4: 7D975635
	s_nop 1                                                    // 0000000029F8: BF800001
	v_cndmask_b32_e32 v176, v168, v169, vcc                    // 0000000029FC: 016153A8
	v_mul_i32_i24_e32 v170, s53, v176                          // 000000002A00: 0D556035
	v_sub_u32_e32 v170, v173, v170                             // 000000002A04: 6B5555AD
	v_mul_u32_u24_e32 v170, 0x100, v170                        // 000000002A08: 115554FF 00000100
	v_mul_u32_u24_e32 v227, s49, v176                          // 000000002A10: 11C76031
	v_add3_u32 v227, v170, v227, v180                          // 000000002A14: D1FF00E3 06D3C7AA
	v_mul_u32_u24_e32 v230, s67, v176                          // 000000002A1C: 11CD6043
	v_add3_u32 v230, v170, v230, v180                          // 000000002A20: D1FF00E6 06D3CDAA
	v_cvt_f32_u32_e32 v168, s53                                // 000000002A28: 7F500C35
	v_sub_i32 v176, 0, s53                                     // 000000002A2C: D29D00B0 00006A80
	v_rcp_iflag_f32_e32 v168, v168                             // 000000002A34: 7F5047A8
	s_nop 0                                                    // 000000002A38: BF800000
	v_mul_f32_e32 v168, 0x4f7ffffe, v168                       // 000000002A3C: 0B5150FF 4F7FFFFE
	v_cvt_u32_f32_e32 v168, v168                               // 000000002A44: 7F500FA8
	v_mul_lo_u32 v169, v176, v168                              // 000000002A48: D28500A9 000351B0
	v_mul_hi_u32 v169, v168, v169                              // 000000002A50: D28600A9 000353A8
	v_add_u32_e32 v168, v168, v169                             // 000000002A58: 695153A8
	v_mul_hi_u32 v168, v174, v168                              // 000000002A5C: D28600A8 000351AE
	v_mul_lo_u32 v169, v168, s53                               // 000000002A64: D28500A9 00006BA8
	v_sub_u32_e32 v171, v174, v169                             // 000000002A6C: 6B5753AE
	v_add_u32_e32 v170, 1, v168                                // 000000002A70: 69555081
	v_cmp_le_u32_e32 vcc, s53, v171                            // 000000002A74: 7D975635
	v_subrev_u32_e32 v169, s53, v171                           // 000000002A78: 6D535635
	s_nop 0                                                    // 000000002A7C: BF800000
	v_cndmask_b32_e32 v168, v168, v170, vcc                    // 000000002A80: 015155A8
	v_cndmask_b32_e32 v171, v171, v169, vcc                    // 000000002A84: 015753AB
	v_add_u32_e32 v169, 1, v168                                // 000000002A88: 69535081
	v_cmp_le_u32_e32 vcc, s53, v171                            // 000000002A8C: 7D975635
	s_nop 1                                                    // 000000002A90: BF800001
	v_cndmask_b32_e32 v176, v168, v169, vcc                    // 000000002A94: 016153A8
	v_mul_i32_i24_e32 v170, s53, v176                          // 000000002A98: 0D556035
	v_sub_u32_e32 v170, v174, v170                             // 000000002A9C: 6B5555AE
	v_mul_u32_u24_e32 v170, 0x100, v170                        // 000000002AA0: 115554FF 00000100
	v_mul_u32_u24_e32 v228, s49, v176                          // 000000002AA8: 11C96031
	v_add3_u32 v228, v170, v228, v180                          // 000000002AAC: D1FF00E4 06D3C9AA
	v_mul_u32_u24_e32 v231, s67, v176                          // 000000002AB4: 11CF6043
	v_add3_u32 v231, v170, v231, v180                          // 000000002AB8: D1FF00E7 06D3CFAA
	s_lshl_b32 s54, s57, 6                                     // 000000002AC0: 8E368639
	v_lshrrev_b32_e32 v180, 4, v0                              // 000000002AC4: 21680084
	v_lshlrev_b32_e32 v180, 4, v180                            // 000000002AC8: 25696884
	v_add_u32_e32 v180, s54, v180                              // 000000002ACC: 69696836
	v_and_b32_e32 v172, 15, v0                                 // 000000002AD0: 2758008F
	v_add_u32_e64 v173, v172, 16                               // 000000002AD4: D13400AD 000121AC
	v_add_u32_e64 v174, v172, 32                               // 000000002ADC: D13400AE 000141AC
	s_mul_i32 s54, s48, s53                                    // 000000002AE4: 92363530
	s_lshl_b32 s54, s54, 2                                     // 000000002AE8: 8E368236
	s_mul_i32 s55, s54, 0x80                                   // 000000002AEC: 9237FF36 00000080
	v_cvt_f32_u32_e32 v168, s53                                // 000000002AF4: 7F500C35
	v_sub_i32 v176, 0, s53                                     // 000000002AF8: D29D00B0 00006A80
	v_rcp_iflag_f32_e32 v168, v168                             // 000000002B00: 7F5047A8
	s_nop 0                                                    // 000000002B04: BF800000
	v_mul_f32_e32 v168, 0x4f7ffffe, v168                       // 000000002B08: 0B5150FF 4F7FFFFE
	v_cvt_u32_f32_e32 v168, v168                               // 000000002B10: 7F500FA8
	v_mul_lo_u32 v169, v176, v168                              // 000000002B14: D28500A9 000351B0
	v_mul_hi_u32 v169, v168, v169                              // 000000002B1C: D28600A9 000353A8
	v_add_u32_e32 v168, v168, v169                             // 000000002B24: 695153A8
	v_mul_hi_u32 v168, v172, v168                              // 000000002B28: D28600A8 000351AC
	v_mul_lo_u32 v169, v168, s53                               // 000000002B30: D28500A9 00006BA8
	v_sub_u32_e32 v171, v172, v169                             // 000000002B38: 6B5753AC
	v_add_u32_e32 v170, 1, v168                                // 000000002B3C: 69555081
	v_cmp_le_u32_e32 vcc, s53, v171                            // 000000002B40: 7D975635
	v_subrev_u32_e32 v169, s53, v171                           // 000000002B44: 6D535635
	s_nop 0                                                    // 000000002B48: BF800000
	v_cndmask_b32_e32 v168, v168, v170, vcc                    // 000000002B4C: 015155A8
	v_cndmask_b32_e32 v171, v171, v169, vcc                    // 000000002B50: 015753AB
	v_add_u32_e32 v169, 1, v168                                // 000000002B54: 69535081
	v_cmp_le_u32_e32 vcc, s53, v171                            // 000000002B58: 7D975635
	s_nop 1                                                    // 000000002B5C: BF800001
	v_cndmask_b32_e32 v176, v168, v169, vcc                    // 000000002B60: 016153A8
	v_mul_i32_i24_e32 v170, s53, v176                          // 000000002B64: 0D556035
	v_sub_u32_e32 v170, v172, v170                             // 000000002B68: 6B5555AC
	v_lshlrev_b32_e32 v171, 2, v170                            // 000000002B6C: 25575482
	v_mul_u32_u24_e32 v240, s54, v176                          // 000000002B70: 11E16036
	v_add_u32_e32 v240, v171, v240                             // 000000002B74: 69E1E1AB
	v_mul_u32_u24_e32 v171, 0x200, v170                        // 000000002B78: 115754FF 00000200
	v_mul_u32_u24_e32 v243, s55, v176                          // 000000002B80: 11E76037
	v_add3_u32 v243, v171, v243, v180                          // 000000002B84: D1FF00F3 06D3E7AB
	v_cvt_f32_u32_e32 v168, s53                                // 000000002B8C: 7F500C35
	v_sub_i32 v176, 0, s53                                     // 000000002B90: D29D00B0 00006A80
	v_rcp_iflag_f32_e32 v168, v168                             // 000000002B98: 7F5047A8
	s_nop 0                                                    // 000000002B9C: BF800000
	v_mul_f32_e32 v168, 0x4f7ffffe, v168                       // 000000002BA0: 0B5150FF 4F7FFFFE
	v_cvt_u32_f32_e32 v168, v168                               // 000000002BA8: 7F500FA8
	v_mul_lo_u32 v169, v176, v168                              // 000000002BAC: D28500A9 000351B0
	v_mul_hi_u32 v169, v168, v169                              // 000000002BB4: D28600A9 000353A8
	v_add_u32_e32 v168, v168, v169                             // 000000002BBC: 695153A8
	v_mul_hi_u32 v168, v173, v168                              // 000000002BC0: D28600A8 000351AD
	v_mul_lo_u32 v169, v168, s53                               // 000000002BC8: D28500A9 00006BA8
	v_sub_u32_e32 v171, v173, v169                             // 000000002BD0: 6B5753AD
	v_add_u32_e32 v170, 1, v168                                // 000000002BD4: 69555081
	v_cmp_le_u32_e32 vcc, s53, v171                            // 000000002BD8: 7D975635
	v_subrev_u32_e32 v169, s53, v171                           // 000000002BDC: 6D535635
	s_nop 0                                                    // 000000002BE0: BF800000
	v_cndmask_b32_e32 v168, v168, v170, vcc                    // 000000002BE4: 015155A8
	v_cndmask_b32_e32 v171, v171, v169, vcc                    // 000000002BE8: 015753AB
	v_add_u32_e32 v169, 1, v168                                // 000000002BEC: 69535081
	v_cmp_le_u32_e32 vcc, s53, v171                            // 000000002BF0: 7D975635
	s_nop 1                                                    // 000000002BF4: BF800001
	v_cndmask_b32_e32 v176, v168, v169, vcc                    // 000000002BF8: 016153A8
	v_mul_i32_i24_e32 v170, s53, v176                          // 000000002BFC: 0D556035
	v_sub_u32_e32 v170, v173, v170                             // 000000002C00: 6B5555AD
	v_lshlrev_b32_e32 v171, 2, v170                            // 000000002C04: 25575482
	v_mul_u32_u24_e32 v241, s54, v176                          // 000000002C08: 11E36036
	v_add_u32_e32 v241, v171, v241                             // 000000002C0C: 69E3E3AB
	v_mul_u32_u24_e32 v171, 0x200, v170                        // 000000002C10: 115754FF 00000200
	v_mul_u32_u24_e32 v244, s55, v176                          // 000000002C18: 11E96037
	v_add3_u32 v244, v171, v244, v180                          // 000000002C1C: D1FF00F4 06D3E9AB
	v_cvt_f32_u32_e32 v168, s53                                // 000000002C24: 7F500C35
	v_sub_i32 v176, 0, s53                                     // 000000002C28: D29D00B0 00006A80
	v_rcp_iflag_f32_e32 v168, v168                             // 000000002C30: 7F5047A8
	s_nop 0                                                    // 000000002C34: BF800000
	v_mul_f32_e32 v168, 0x4f7ffffe, v168                       // 000000002C38: 0B5150FF 4F7FFFFE
	v_cvt_u32_f32_e32 v168, v168                               // 000000002C40: 7F500FA8
	v_mul_lo_u32 v169, v176, v168                              // 000000002C44: D28500A9 000351B0
	v_mul_hi_u32 v169, v168, v169                              // 000000002C4C: D28600A9 000353A8
	v_add_u32_e32 v168, v168, v169                             // 000000002C54: 695153A8
	v_mul_hi_u32 v168, v174, v168                              // 000000002C58: D28600A8 000351AE
	v_mul_lo_u32 v169, v168, s53                               // 000000002C60: D28500A9 00006BA8
	v_sub_u32_e32 v171, v174, v169                             // 000000002C68: 6B5753AE
	v_add_u32_e32 v170, 1, v168                                // 000000002C6C: 69555081
	v_cmp_le_u32_e32 vcc, s53, v171                            // 000000002C70: 7D975635
	v_subrev_u32_e32 v169, s53, v171                           // 000000002C74: 6D535635
	s_nop 0                                                    // 000000002C78: BF800000
	v_cndmask_b32_e32 v168, v168, v170, vcc                    // 000000002C7C: 015155A8
	v_cndmask_b32_e32 v171, v171, v169, vcc                    // 000000002C80: 015753AB
	v_add_u32_e32 v169, 1, v168                                // 000000002C84: 69535081
	v_cmp_le_u32_e32 vcc, s53, v171                            // 000000002C88: 7D975635
	s_nop 1                                                    // 000000002C8C: BF800001
	v_cndmask_b32_e32 v176, v168, v169, vcc                    // 000000002C90: 016153A8
	v_mul_i32_i24_e32 v170, s53, v176                          // 000000002C94: 0D556035
	v_sub_u32_e32 v170, v174, v170                             // 000000002C98: 6B5555AE
	v_lshlrev_b32_e32 v171, 2, v170                            // 000000002C9C: 25575482
	v_mul_u32_u24_e32 v242, s54, v176                          // 000000002CA0: 11E56036
	v_add_u32_e32 v242, v171, v242                             // 000000002CA4: 69E5E5AB
	v_mul_u32_u24_e32 v171, 0x200, v170                        // 000000002CA8: 115754FF 00000200
	v_mul_u32_u24_e32 v245, s55, v176                          // 000000002CB0: 11EB6037
	v_add3_u32 v245, v171, v245, v180                          // 000000002CB4: D1FF00F5 06D3EBAB
	s_mul_i32 s54, s57, 64                                     // 000000002CBC: 9236C039
	v_and_b32_e32 v168, 15, v0                                 // 000000002CC0: 2750008F
	v_mul_i32_i24_e32 v168, 0x100, v168                        // 000000002CC4: 0D5150FF 00000100
	v_lshrrev_b32_e32 v169, 4, v0                              // 000000002CCC: 21520084
	v_mul_i32_i24_e32 v169, 16, v169                           // 000000002CD0: 0D535290
	v_add3_u32 v246, v168, v169, s54                           // 000000002CD4: D1FF00F6 00DB53A8
	v_and_b32_e32 v248, 15, v0                                 // 000000002CDC: 27F0008F
	v_mul_i32_i24_e32 v248, 16, v248                           // 000000002CE0: 0DF1F090
	s_mul_i32 s54, s57, 0x240                                  // 000000002CE4: 9236FF39 00000240
	v_lshrrev_b32_e32 v168, 4, v0                              // 000000002CEC: 21500084
	v_lshlrev_b32_e32 v168, 7, v168                            // 000000002CF0: 25515087
	v_lshrrev_b32_e32 v169, 5, v0                              // 000000002CF4: 21520085
	v_lshlrev_b32_e32 v169, 5, v169                            // 000000002CF8: 25535285
	v_and_b32_e32 v170, 15, v0                                 // 000000002CFC: 2754008F
	v_lshlrev_b32_e32 v170, 3, v170                            // 000000002D00: 25555483
	v_add3_u32 v168, v168, v169, v170                          // 000000002D04: D1FF00A8 06AB53A8
	v_add_u32_e32 v247, s54, v168                              // 000000002D0C: 69EF5036
	v_and_b32_e32 v168, 15, v0                                 // 000000002D10: 2750008F
	v_lshlrev_b32_e32 v169, 7, v168                            // 000000002D14: 25535087
	v_lshrrev_b32_e32 v168, 1, v168                            // 000000002D18: 21515081
	v_lshlrev_b32_e32 v168, 5, v168                            // 000000002D1C: 25515085
	v_lshrrev_b32_e32 v170, 4, v0                              // 000000002D20: 21540084
	v_lshlrev_b32_e32 v170, 4, v170                            // 000000002D24: 25555484
	v_add3_u32 v249, v168, v169, v170                          // 000000002D28: D1FF00F9 06AB53A8
	s_mul_i32 s54, s57, 0x240                                  // 000000002D30: 9236FF39 00000240
	v_lshrrev_b32_e32 v168, 5, v0                              // 000000002D38: 21500085
	v_mul_i32_i24_e32 v168, 0x120, v168                        // 000000002D3C: 0D5150FF 00000120
	v_lshrrev_b32_e32 v169, 4, v0                              // 000000002D44: 21520084
	v_and_b32_e32 v169, 1, v169                                // 000000002D48: 27535281
	v_lshlrev_b32_e32 v169, 3, v169                            // 000000002D4C: 25535283
	v_and_b32_e32 v170, 15, v0                                 // 000000002D50: 2754008F
	v_lshlrev_b32_e32 v170, 4, v170                            // 000000002D54: 25555484
	v_add3_u32 v250, v168, v169, v170                          // 000000002D58: D1FF00FA 06AB53A8
	v_add_u32_e32 v250, s54, v250                              // 000000002D60: 69F5F436
	s_lshl_b32 s54, s57, 6                                     // 000000002D64: 8E368639
	v_lshrrev_b32_e32 v168, 4, v0                              // 000000002D68: 21500084
	v_lshlrev_b32_e32 v168, 4, v168                            // 000000002D6C: 25515084
	v_and_b32_e32 v169, 15, v0                                 // 000000002D70: 2752008F
	v_mul_i32_i24_e32 v169, 0x120, v169                        // 000000002D74: 0D5352FF 00000120
	v_add3_u32 v251, v168, v169, s54                           // 000000002D7C: D1FF00FB 00DB53A8
	v_lshrrev_b32_e32 v168, 4, v0                              // 000000002D84: 21500084
	v_and_b32_e32 v169, 15, v0                                 // 000000002D88: 2752008F
	v_lshlrev_b32_e32 v170, 4, v169                            // 000000002D8C: 25555284
	v_mul_i32_i24_e32 v232, 0x1000, v168                       // 000000002D90: 0DD150FF 00001000
	v_add_u32_e32 v232, v170, v232                             // 000000002D98: 69D1D1AA
	v_add_u32_e32 v233, 0x4000, v232                           // 000000002D9C: 69D3D0FF 00004000
	v_mul_i32_i24_e32 v234, 0x800, v168                        // 000000002DA4: 0DD550FF 00000800
	v_add_u32_e32 v234, v170, v234                             // 000000002DAC: 69D5D5AA
	v_add_u32_e32 v235, 0x2000, v234                           // 000000002DB0: 69D7D4FF 00002000
	v_add_u32_e32 v236, 0x2000, v235                           // 000000002DB8: 69D9D6FF 00002000
	v_add_u32_e32 v237, 0x2000, v236                           // 000000002DC0: 69DBD8FF 00002000
	v_mov_b32_e32 v238, 0                                      // 000000002DC8: 7FDC0280
	v_mov_b32_e32 v239, 0                                      // 000000002DCC: 7FDE0280
	s_lshl_b32 s54, s57, 4                                     // 000000002DD0: 8E368439
	v_lshrrev_b32_e32 v222, 4, v0                              // 000000002DD4: 21BC0084
	v_lshlrev_b32_e32 v222, 2, v222                            // 000000002DD8: 25BDBC82
	v_add_u32_e32 v222, s54, v222                              // 000000002DDC: 69BDBC36
	v_add_u32_e32 v168, 0x80, v222                             // 000000002DE0: 6951BCFF 00000080
	v_cndmask_b32_e64 v223, v222, v168, s[0:1]                 // 000000002DE8: D10000DF 000351DE
	s_lshl_b32 s54, s57, 6                                     // 000000002DF0: 8E368639
	v_lshrrev_b32_e32 v168, 4, v0                              // 000000002DF4: 21500084
	v_lshlrev_b32_e32 v168, 8, v168                            // 000000002DF8: 25515088
	v_and_b32_e32 v169, 15, v0                                 // 000000002DFC: 2752008F
	v_lshlrev_b32_e32 v169, 2, v169                            // 000000002E00: 25535282
	v_add3_u32 v252, s54, v168, v169                           // 000000002E04: D1FF00FC 06A75036
	v_lshlrev_b32_e32 v252, 2, v252                            // 000000002E0C: 25F9F882
	v_and_b32_e32 v253, 15, v0                                 // 000000002E10: 27FA008F
	v_lshlrev_b32_e32 v253, 4, v253                            // 000000002E14: 25FBFA84
	s_lshl_b32 s54, s57, 8                                     // 000000002E18: 8E368839
	v_and_b32_e32 v169, 15, v0                                 // 000000002E1C: 2752008F
	v_lshlrev_b32_e32 v169, 4, v169                            // 000000002E20: 25535284
	v_lshrrev_b32_e32 v170, 4, v0                              // 000000002E24: 21540084
	v_lshlrev_b32_e32 v170, 2, v170                            // 000000002E28: 25555482
	v_add3_u32 v254, v169, v170, s54                           // 000000002E2C: D1FF00FE 00DB55A9
	v_and_b32_e32 v168, 15, v0                                 // 000000002E34: 2750008F
	v_lshlrev_b32_e32 v168, 4, v168                            // 000000002E38: 25515084
	v_lshrrev_b32_e32 v169, 4, v0                              // 000000002E3C: 21520084
	v_lshlrev_b32_e32 v169, 8, v169                            // 000000002E40: 25535288
	v_add_u32_e32 v255, v168, v169                             // 000000002E44: 69FF53A8
	s_waitcnt lgkmcnt(0)                                       // 000000002E48: BF8CC07F

0000000000002e4c <label_0213>:
	s_cmp_lt_i32 s80, s81                                      // 000000002E4C: BF045150
	s_cbranch_scc0 label_21AB                                  // 000000002E50: BF841F96
	s_lshl_b32 s54, s80, 5                                     // 000000002E54: 8E368550
	s_load_dwordx8 s[72:79], s[38:39], s54                     // 000000002E58: C00C1213 00000036
	v_mov_b32_e32 v194, 0xff7fffff                             // 000000002E60: 7F8402FF FF7FFFFF
	v_mov_b64_e32 v[200:201], 0                                // 000000002E68: 7F907080
	v_mov_b64_e32 v[206:207], 0                                // 000000002E6C: 7F9C7080
	v_mov_b64_e32 v[158:159], 0                                // 000000002E70: 7F3C7080
	v_mov_b32_e32 v195, 0xff7fffff                             // 000000002E74: 7F8602FF FF7FFFFF
	v_mov_b64_e32 v[202:203], 0                                // 000000002E7C: 7F947080
	v_mov_b64_e32 v[208:209], 0                                // 000000002E80: 7FA07080
	v_mov_b64_e32 v[160:161], 0                                // 000000002E84: 7F407080
	v_mov_b32_e32 v196, 0xff7fffff                             // 000000002E88: 7F8802FF FF7FFFFF
	v_mov_b64_e32 v[204:205], 0                                // 000000002E90: 7F987080
	v_mov_b64_e32 v[210:211], 0                                // 000000002E94: 7FA47080
	v_mov_b64_e32 v[162:163], 0                                // 000000002E98: 7F447080
	v_mov_b32_e32 v124, 0                                      // 000000002E9C: 7EF80280
	v_mov_b32_e32 v100, 0                                      // 000000002EA0: 7EC80280
	v_mov_b32_e32 v125, 0                                      // 000000002EA4: 7EFA0280
	v_mov_b32_e32 v101, 0                                      // 000000002EA8: 7ECA0280
	v_mov_b32_e32 v126, 0                                      // 000000002EAC: 7EFC0280
	v_mov_b32_e32 v102, 0                                      // 000000002EB0: 7ECC0280
	v_mov_b32_e32 v127, 0                                      // 000000002EB4: 7EFE0280
	v_mov_b32_e32 v103, 0                                      // 000000002EB8: 7ECE0280
	v_mov_b32_e32 v128, 0                                      // 000000002EBC: 7F000280
	v_mov_b32_e32 v104, 0                                      // 000000002EC0: 7ED00280
	v_mov_b32_e32 v129, 0                                      // 000000002EC4: 7F020280
	v_mov_b32_e32 v105, 0                                      // 000000002EC8: 7ED20280
	v_mov_b32_e32 v130, 0                                      // 000000002ECC: 7F040280
	v_mov_b32_e32 v106, 0                                      // 000000002ED0: 7ED40280
	v_mov_b32_e32 v131, 0                                      // 000000002ED4: 7F060280
	v_mov_b32_e32 v107, 0                                      // 000000002ED8: 7ED60280
	v_mov_b32_e32 v132, 0                                      // 000000002EDC: 7F080280
	v_mov_b32_e32 v108, 0                                      // 000000002EE0: 7ED80280
	v_mov_b32_e32 v133, 0                                      // 000000002EE4: 7F0A0280
	v_mov_b32_e32 v109, 0                                      // 000000002EE8: 7EDA0280
	v_mov_b32_e32 v134, 0                                      // 000000002EEC: 7F0C0280
	v_mov_b32_e32 v110, 0                                      // 000000002EF0: 7EDC0280
	v_mov_b32_e32 v135, 0                                      // 000000002EF4: 7F0E0280
	v_mov_b32_e32 v111, 0                                      // 000000002EF8: 7EDE0280
	v_mov_b32_e32 v136, 0                                      // 000000002EFC: 7F100280
	v_mov_b32_e32 v112, 0                                      // 000000002F00: 7EE00280
	v_mov_b32_e32 v137, 0                                      // 000000002F04: 7F120280
	v_mov_b32_e32 v113, 0                                      // 000000002F08: 7EE20280
	v_mov_b32_e32 v138, 0                                      // 000000002F0C: 7F140280
	v_mov_b32_e32 v114, 0                                      // 000000002F10: 7EE40280
	v_mov_b32_e32 v139, 0                                      // 000000002F14: 7F160280
	v_mov_b32_e32 v115, 0                                      // 000000002F18: 7EE60280
	v_mov_b32_e32 v140, 0                                      // 000000002F1C: 7F180280
	v_mov_b32_e32 v116, 0                                      // 000000002F20: 7EE80280
	v_mov_b32_e32 v141, 0                                      // 000000002F24: 7F1A0280
	v_mov_b32_e32 v117, 0                                      // 000000002F28: 7EEA0280
	v_mov_b32_e32 v142, 0                                      // 000000002F2C: 7F1C0280
	v_mov_b32_e32 v118, 0                                      // 000000002F30: 7EEC0280
	v_mov_b32_e32 v143, 0                                      // 000000002F34: 7F1E0280
	v_mov_b32_e32 v119, 0                                      // 000000002F38: 7EEE0280
	v_mov_b32_e32 v144, 0                                      // 000000002F3C: 7F200280
	v_mov_b32_e32 v120, 0                                      // 000000002F40: 7EF00280
	v_mov_b32_e32 v145, 0                                      // 000000002F44: 7F220280
	v_mov_b32_e32 v121, 0                                      // 000000002F48: 7EF20280
	v_mov_b32_e32 v146, 0                                      // 000000002F4C: 7F240280
	v_mov_b32_e32 v122, 0                                      // 000000002F50: 7EF40280
	v_mov_b32_e32 v147, 0                                      // 000000002F54: 7F260280
	v_mov_b32_e32 v123, 0                                      // 000000002F58: 7EF60280
	s_waitcnt lgkmcnt(0)                                       // 000000002F5C: BF8CC07F
	s_mul_i32 s64, s76, 0x100                                  // 000000002F60: 9240FF4C 00000100
	s_lshl_b32 s54, s72, 2                                     // 000000002F68: 8E368248
	s_load_dword s60, s[44:45], s54                            // 000000002F6C: C0000F16 00000036
	s_load_dword s61, s[40:41], s54                            // 000000002F74: C0000F54 00000036
	s_lshl_b32 s68, s76, 2                                     // 000000002F7C: 8E44824C
	s_cmp_lt_u32 s76, s77                                      // 000000002F80: BF0A4D4C
	s_cselect_b32 s68, s68, 0                                  // 000000002F84: 85448044
	s_addk_i32 s76, 0x1                                        // 000000002F88: B74C0001
	s_load_dword s59, s[42:43], s68                            // 000000002F8C: C0000ED5 00000044
	s_and_b32 s79, s79, 0xffff                                 // 000000002F94: 864FFF4F 0000FFFF
	v_cvt_f32_u32_e32 v168, s53                                // 000000002F9C: 7F500C35
	s_sub_i32 s78, 0, s53                                      // 000000002FA0: 81CE3580
	v_rcp_iflag_f32_e32 v168, v168                             // 000000002FA4: 7F5047A8
	s_nop 0                                                    // 000000002FA8: BF800000
	v_mul_f32_e32 v168, 0x4f7ffffe, v168                       // 000000002FAC: 0B5150FF 4F7FFFFE
	v_cvt_u32_f32_e32 v168, v168                               // 000000002FB4: 7F500FA8
	v_mul_lo_u32 v169, s78, v168                               // 000000002FB8: D28500A9 0003504E
	v_mul_hi_u32 v169, v168, v169                              // 000000002FC0: D28600A9 000353A8
	v_add_u32_e32 v168, v168, v169                             // 000000002FC8: 695153A8
	v_mul_hi_u32 v168, s79, v168                               // 000000002FCC: D28600A8 0003504F
	v_mul_lo_u32 v169, v168, s53                               // 000000002FD4: D28500A9 00006BA8
	v_sub_u32_e32 v171, s79, v169                              // 000000002FDC: 6B57524F
	v_add_u32_e32 v170, 1, v168                                // 000000002FE0: 69555081
	v_cmp_le_u32_e32 vcc, s53, v171                            // 000000002FE4: 7D975635
	v_subrev_u32_e32 v169, s53, v171                           // 000000002FE8: 6D535635
	s_nop 0                                                    // 000000002FEC: BF800000
	v_cndmask_b32_e32 v168, v168, v170, vcc                    // 000000002FF0: 015155A8
	v_cndmask_b32_e32 v171, v171, v169, vcc                    // 000000002FF4: 015753AB
	v_add_u32_e32 v169, 1, v168                                // 000000002FF8: 69535081
	v_cmp_le_u32_e32 vcc, s53, v171                            // 000000002FFC: 7D975635
	s_nop 1                                                    // 000000003000: BF800001
	v_cndmask_b32_e32 v171, v168, v169, vcc                    // 000000003004: 015753A8
	s_nop 3                                                    // 000000003008: BF800003
	v_readfirstlane_b32 s78, v171                              // 00000000300C: 7E9C05AB
	s_nop 3                                                    // 000000003010: BF800003
	s_mul_i32 s65, s53, 0x100                                  // 000000003014: 9241FF35 00000100
	s_add_u32 s54, s52, 1                                      // 00000000301C: 80368134
	s_mul_i32 s54, s49, s54                                    // 000000003020: 92363631
	s_mul_i32 s54, s72, s54                                    // 000000003024: 92363648
	s_mul_i32 s55, s78, s65                                    // 000000003028: 9237414E
	s_add_u32 s54, s54, s55                                    // 00000000302C: 80363736
	s_add_u32 s8, s84, s54                                     // 000000003030: 80083654
	s_addc_u32 s9, s85, 0                                      // 000000003034: 82098055
	s_mul_i32 s54, s52, s49                                    // 000000003038: 92363134
	s_add_u32 s10, s54, s65                                    // 00000000303C: 800A4136
	s_add_u32 s54, s52, 1                                      // 000000003040: 80368134
	s_mul_i32 s54, s54, s67                                    // 000000003044: 92364336
	s_mul_i32 s54, s54, s72                                    // 000000003048: 92364836
	s_mul_i32 s55, s78, s65                                    // 00000000304C: 9237414E
	s_add_u32 s54, s54, s55                                    // 000000003050: 80363736
	s_add_u32 s4, s82, s54                                     // 000000003054: 80043652
	s_addc_u32 s5, s83, 0                                      // 000000003058: 82058053
	s_mul_i32 s54, s52, s67                                    // 00000000305C: 92364334
	s_add_u32 s6, s54, s65                                     // 000000003060: 80064136
	s_mul_i32 s55, s53, 0x200                                  // 000000003064: 9237FF35 00000200
	s_mul_i32 s54, s73, s48                                    // 00000000306C: 92363049
	s_add_u32 s54, s54, s78                                    // 000000003070: 80364E36
	s_mul_i32 s54, s54, s55                                    // 000000003074: 92363736
	s_add_u32 s28, s94, s54                                    // 000000003078: 801C365E
	s_addc_u32 s29, s95, 0                                     // 00000000307C: 821D805F
	s_add_u32 s54, s52, 1                                      // 000000003080: 80368134
	s_mul_i32 s54, s54, s48                                    // 000000003084: 92363036
	s_mul_i32 s30, s54, s55                                    // 000000003088: 921E3736
	s_mul_i32 s55, s53, 4                                      // 00000000308C: 92378435
	s_mul_i32 s54, s73, s48                                    // 000000003090: 92363049
	s_add_u32 s54, s54, s78                                    // 000000003094: 80364E36
	s_mul_i32 s54, s54, s55                                    // 000000003098: 92363736
	s_add_u32 s32, s96, s54                                    // 00000000309C: 80203660
	s_addc_u32 s33, s97, 0                                     // 0000000030A0: 82218061
	s_add_u32 s54, s52, 1                                      // 0000000030A4: 80368134
	s_mul_i32 s54, s54, s48                                    // 0000000030A8: 92363036
	s_mul_i32 s34, s54, s55                                    // 0000000030AC: 92223736
	buffer_load_dwordx4 v[4:7], v226, s[8:11], 0 offen         // 0000000030B0: E05C1000 800204E2
	buffer_load_dwordx4 v[8:11], v227, s[8:11], 0 offen        // 0000000030B8: E05C1000 800208E3
	buffer_load_dwordx4 v[12:15], v228, s[8:11], 0 offen       // 0000000030C0: E05C1000 80020CE4
	s_waitcnt lgkmcnt(0)                                       // 0000000030C8: BF8CC07F
	s_mul_i32 s54, s60, 0x100                                  // 0000000030CC: 9236FF3C 00000100
	s_sub_i32 s64, s64, s54                                    // 0000000030D4: 81C03640
	s_mul_i32 s69, s59, s50                                    // 0000000030D8: 9245323B
	s_mul_i32 s71, s59, s66                                    // 0000000030DC: 9247423B
	s_mul_i32 s54, s78, s51                                    // 0000000030E0: 9236334E
	s_add_u32 s69, s69, s54                                    // 0000000030E4: 80453645
	s_mov_b32 s70, s69                                         // 0000000030E8: BEC60045
	s_mul_i32 s54, s78, 4                                      // 0000000030EC: 9236844E
	s_add_u32 s71, s71, s54                                    // 0000000030F0: 80473647
	s_add_u32 s12, s86, s69                                    // 0000000030F4: 800C4556
	s_addc_u32 s13, s87, 0                                     // 0000000030F8: 820D8057
	s_add_u32 s16, s88, s70                                    // 0000000030FC: 80104658
	s_addc_u32 s17, s89, 0                                     // 000000003100: 82118059
	s_add_u32 s20, s90, s71                                    // 000000003104: 8014475A
	s_addc_u32 s21, s91, 0                                     // 000000003108: 8215805B
	s_add_u32 s24, s92, s71                                    // 00000000310C: 8018475C
	s_addc_u32 s25, s93, 0                                     // 000000003110: 8219805D
	buffer_load_dwordx4 a[24:27], v232, s[12:15], 0 offen      // 000000003114: E05C1000 808318E8
	buffer_load_dwordx4 a[28:31], v233, s[12:15], 0 offen      // 00000000311C: E05C1000 80831CE9
	buffer_load_dwordx4 a[32:35], v232, s[12:15], 0 offen offset:1024// 000000003124: E05C1400 808320E8
	buffer_load_dwordx4 a[36:39], v233, s[12:15], 0 offen offset:1024// 00000000312C: E05C1400 808324E9
	buffer_load_dwordx4 a[40:43], v232, s[12:15], 0 offen offset:2048// 000000003134: E05C1800 808328E8
	buffer_load_dwordx4 a[44:47], v233, s[12:15], 0 offen offset:2048// 00000000313C: E05C1800 80832CE9
	buffer_load_dwordx4 a[48:51], v232, s[12:15], 0 offen offset:3072// 000000003144: E05C1C00 808330E8
	buffer_load_dwordx4 a[52:55], v233, s[12:15], 0 offen offset:3072// 00000000314C: E05C1C00 808334E9
	buffer_load_dword v154, v238, s[20:23], 0 offen            // 000000003154: E0501000 80059AEE
	buffer_load_dword v156, v239, s[24:27], 0 offen            // 00000000315C: E0501000 80069CEF
	buffer_load_dwordx4 a[88:91], v234, s[16:19], 0 offen      // 000000003164: E05C1000 808458EA
	buffer_load_dwordx4 a[92:95], v235, s[16:19], 0 offen      // 00000000316C: E05C1000 80845CEB
	buffer_load_dwordx4 a[96:99], v236, s[16:19], 0 offen      // 000000003174: E05C1000 808460EC
	buffer_load_dwordx4 a[100:103], v237, s[16:19], 0 offen    // 00000000317C: E05C1000 808464ED
	buffer_load_dwordx4 a[104:107], v234, s[16:19], 0 offen offset:1024// 000000003184: E05C1400 808468EA
	buffer_load_dwordx4 a[108:111], v235, s[16:19], 0 offen offset:1024// 00000000318C: E05C1400 80846CEB
	buffer_load_dwordx4 a[112:115], v236, s[16:19], 0 offen offset:1024// 000000003194: E05C1400 808470EC
	buffer_load_dwordx4 a[116:119], v237, s[16:19], 0 offen offset:1024// 00000000319C: E05C1400 808474ED
	s_sub_i32 s54, s77, s60                                    // 0000000031A4: 81B63C4D
	s_mul_i32 s62, s54, 0x100                                  // 0000000031A8: 923EFF36 00000100
	s_cmp_lt_i32 s62, s61                                      // 0000000031B0: BF043D3E
	s_cselect_b32 s62, s62, s61                                // 0000000031B4: 853E3D3E
	s_sub_i32 s54, s61, s52                                    // 0000000031B8: 81B6343D
	v_and_b32_e32 v172, 15, v0                                 // 0000000031BC: 2758008F
	v_add_u32_e32 v173, 16, v172                               // 0000000031C0: 695B5890
	v_and_b32_e32 v174, 7, v0                                  // 0000000031C4: 275C0087
	v_add_u32_e32 v174, 32, v174                               // 0000000031C8: 695D5CA0
	s_cmp_lt_i32 s62, s54                                      // 0000000031CC: BF04363E
	s_cselect_b32 s63, s62, s54                                // 0000000031D0: 853F363E
	s_and_b32 s63, s63, 0xffffff00                             // 0000000031D4: 863FFF3F FFFFFF00
	v_cvt_f32_u32_e32 v168, s53                                // 0000000031DC: 7F500C35
	v_sub_i32 v176, 0, s53                                     // 0000000031E0: D29D00B0 00006A80
	v_rcp_iflag_f32_e32 v168, v168                             // 0000000031E8: 7F5047A8
	s_nop 0                                                    // 0000000031EC: BF800000
	v_mul_f32_e32 v168, 0x4f7ffffe, v168                       // 0000000031F0: 0B5150FF 4F7FFFFE
	v_cvt_u32_f32_e32 v168, v168                               // 0000000031F8: 7F500FA8
	v_mul_lo_u32 v169, v176, v168                              // 0000000031FC: D28500A9 000351B0
	v_mul_hi_u32 v169, v168, v169                              // 000000003204: D28600A9 000353A8
	v_add_u32_e32 v168, v168, v169                             // 00000000320C: 695153A8
	v_mul_hi_u32 v168, v172, v168                              // 000000003210: D28600A8 000351AC
	v_mul_lo_u32 v169, v168, s53                               // 000000003218: D28500A9 00006BA8
	v_sub_u32_e32 v171, v172, v169                             // 000000003220: 6B5753AC
	v_add_u32_e32 v170, 1, v168                                // 000000003224: 69555081
	v_cmp_le_u32_e32 vcc, s53, v171                            // 000000003228: 7D975635
	v_subrev_u32_e32 v169, s53, v171                           // 00000000322C: 6D535635
	s_nop 0                                                    // 000000003230: BF800000
	v_cndmask_b32_e32 v168, v168, v170, vcc                    // 000000003234: 015155A8
	v_cndmask_b32_e32 v171, v171, v169, vcc                    // 000000003238: 015753AB
	v_add_u32_e32 v169, 1, v168                                // 00000000323C: 69535081
	v_cmp_le_u32_e32 vcc, s53, v171                            // 000000003240: 7D975635
	s_nop 1                                                    // 000000003244: BF800001
	v_cndmask_b32_e32 v176, v168, v169, vcc                    // 000000003248: 016153A8
	v_add_u32_e32 v219, s54, v176                              // 00000000324C: 69B76036
	v_cmp_lt_u32_e32 vcc, s62, v219                            // 000000003250: 7D93B63E
	v_mov_b32_e32 v169, s62                                    // 000000003254: 7F52023E
	v_cndmask_b32_e32 v219, v219, v169, vcc                    // 000000003258: 01B753DB
	v_cvt_f32_u32_e32 v168, s53                                // 00000000325C: 7F500C35
	v_sub_i32 v176, 0, s53                                     // 000000003260: D29D00B0 00006A80
	v_rcp_iflag_f32_e32 v168, v168                             // 000000003268: 7F5047A8
	s_nop 0                                                    // 00000000326C: BF800000
	v_mul_f32_e32 v168, 0x4f7ffffe, v168                       // 000000003270: 0B5150FF 4F7FFFFE
	v_cvt_u32_f32_e32 v168, v168                               // 000000003278: 7F500FA8
	v_mul_lo_u32 v169, v176, v168                              // 00000000327C: D28500A9 000351B0
	v_mul_hi_u32 v169, v168, v169                              // 000000003284: D28600A9 000353A8
	v_add_u32_e32 v168, v168, v169                             // 00000000328C: 695153A8
	v_mul_hi_u32 v168, v173, v168                              // 000000003290: D28600A8 000351AD
	v_mul_lo_u32 v169, v168, s53                               // 000000003298: D28500A9 00006BA8
	v_sub_u32_e32 v171, v173, v169                             // 0000000032A0: 6B5753AD
	v_add_u32_e32 v170, 1, v168                                // 0000000032A4: 69555081
	v_cmp_le_u32_e32 vcc, s53, v171                            // 0000000032A8: 7D975635
	v_subrev_u32_e32 v169, s53, v171                           // 0000000032AC: 6D535635
	s_nop 0                                                    // 0000000032B0: BF800000
	v_cndmask_b32_e32 v168, v168, v170, vcc                    // 0000000032B4: 015155A8
	v_cndmask_b32_e32 v171, v171, v169, vcc                    // 0000000032B8: 015753AB
	v_add_u32_e32 v169, 1, v168                                // 0000000032BC: 69535081
	v_cmp_le_u32_e32 vcc, s53, v171                            // 0000000032C0: 7D975635
	s_nop 1                                                    // 0000000032C4: BF800001
	v_cndmask_b32_e32 v176, v168, v169, vcc                    // 0000000032C8: 016153A8
	v_add_u32_e32 v220, s54, v176                              // 0000000032CC: 69B96036
	v_cmp_lt_u32_e32 vcc, s62, v220                            // 0000000032D0: 7D93B83E
	v_mov_b32_e32 v169, s62                                    // 0000000032D4: 7F52023E
	v_cndmask_b32_e32 v220, v220, v169, vcc                    // 0000000032D8: 01B953DC
	v_cvt_f32_u32_e32 v168, s53                                // 0000000032DC: 7F500C35
	v_sub_i32 v176, 0, s53                                     // 0000000032E0: D29D00B0 00006A80
	v_rcp_iflag_f32_e32 v168, v168                             // 0000000032E8: 7F5047A8
	s_nop 0                                                    // 0000000032EC: BF800000
	v_mul_f32_e32 v168, 0x4f7ffffe, v168                       // 0000000032F0: 0B5150FF 4F7FFFFE
	v_cvt_u32_f32_e32 v168, v168                               // 0000000032F8: 7F500FA8
	v_mul_lo_u32 v169, v176, v168                              // 0000000032FC: D28500A9 000351B0
	v_mul_hi_u32 v169, v168, v169                              // 000000003304: D28600A9 000353A8
	v_add_u32_e32 v168, v168, v169                             // 00000000330C: 695153A8
	v_mul_hi_u32 v168, v174, v168                              // 000000003310: D28600A8 000351AE
	v_mul_lo_u32 v169, v168, s53                               // 000000003318: D28500A9 00006BA8
	v_sub_u32_e32 v171, v174, v169                             // 000000003320: 6B5753AE
	v_add_u32_e32 v170, 1, v168                                // 000000003324: 69555081
	v_cmp_le_u32_e32 vcc, s53, v171                            // 000000003328: 7D975635
	v_subrev_u32_e32 v169, s53, v171                           // 00000000332C: 6D535635
	s_nop 0                                                    // 000000003330: BF800000
	v_cndmask_b32_e32 v168, v168, v170, vcc                    // 000000003334: 015155A8
	v_cndmask_b32_e32 v171, v171, v169, vcc                    // 000000003338: 015753AB
	v_add_u32_e32 v169, 1, v168                                // 00000000333C: 69535081
	v_cmp_le_u32_e32 vcc, s53, v171                            // 000000003340: 7D975635
	s_nop 1                                                    // 000000003344: BF800001
	v_cndmask_b32_e32 v176, v168, v169, vcc                    // 000000003348: 016153A8
	v_add_u32_e32 v221, s54, v176                              // 00000000334C: 69BB6036
	v_cmp_lt_u32_e32 vcc, s62, v221                            // 000000003350: 7D93BA3E
	v_mov_b32_e32 v169, s62                                    // 000000003354: 7F52023E
	v_cndmask_b32_e32 v221, v221, v169, vcc                    // 000000003358: 01BB53DD
	s_waitcnt vmcnt(18)                                        // 00000000335C: BF8C4F72
	v_lshlrev_b32_e32 v16, 16, v4                              // 000000003360: 24200890
	v_and_b32_e32 v17, 0xffff0000, v4                          // 000000003364: 262208FF FFFF0000
	v_lshlrev_b32_e32 v18, 16, v5                              // 00000000336C: 24240A90
	v_and_b32_e32 v19, 0xffff0000, v5                          // 000000003370: 26260AFF FFFF0000
	v_lshlrev_b32_e32 v20, 16, v6                              // 000000003378: 24280C90
	v_and_b32_e32 v21, 0xffff0000, v6                          // 00000000337C: 262A0CFF FFFF0000
	v_lshlrev_b32_e32 v22, 16, v7                              // 000000003384: 242C0E90
	v_and_b32_e32 v23, 0xffff0000, v7                          // 000000003388: 262E0EFF FFFF0000
	v_lshlrev_b32_e32 v24, 16, v8                              // 000000003390: 24301090
	v_and_b32_e32 v25, 0xffff0000, v8                          // 000000003394: 263210FF FFFF0000
	v_lshlrev_b32_e32 v26, 16, v9                              // 00000000339C: 24341290
	v_and_b32_e32 v27, 0xffff0000, v9                          // 0000000033A0: 263612FF FFFF0000
	v_lshlrev_b32_e32 v28, 16, v10                             // 0000000033A8: 24381490
	v_and_b32_e32 v29, 0xffff0000, v10                         // 0000000033AC: 263A14FF FFFF0000
	v_lshlrev_b32_e32 v30, 16, v11                             // 0000000033B4: 243C1690
	v_and_b32_e32 v31, 0xffff0000, v11                         // 0000000033B8: 263E16FF FFFF0000
	v_lshlrev_b32_e32 v32, 16, v12                             // 0000000033C0: 24401890
	v_and_b32_e32 v33, 0xffff0000, v12                         // 0000000033C4: 264218FF FFFF0000
	v_lshlrev_b32_e32 v34, 16, v13                             // 0000000033CC: 24441A90
	v_and_b32_e32 v35, 0xffff0000, v13                         // 0000000033D0: 26461AFF FFFF0000
	v_lshlrev_b32_e32 v36, 16, v14                             // 0000000033D8: 24481C90
	v_and_b32_e32 v37, 0xffff0000, v14                         // 0000000033DC: 264A1CFF FFFF0000
	v_lshlrev_b32_e32 v38, 16, v15                             // 0000000033E4: 244C1E90
	v_and_b32_e32 v39, 0xffff0000, v15                         // 0000000033E8: 264E1EFF FFFF0000
	v_mov_b32_e32 v188, 0x358637bd                             // 0000000033F0: 7F7802FF 358637BD
	v_max3_f32 v188, |v16|, |v17|, v188                        // 0000000033F8: D1D303BC 06F22310
	v_max3_f32 v188, |v18|, |v19|, v188                        // 000000003400: D1D303BC 06F22712
	v_max3_f32 v188, |v20|, |v21|, v188                        // 000000003408: D1D303BC 06F22B14
	v_max3_f32 v188, |v22|, |v23|, v188                        // 000000003410: D1D303BC 06F22F16
	v_mov_b32_e32 v189, 0x358637bd                             // 000000003418: 7F7A02FF 358637BD
	v_max3_f32 v189, |v24|, |v25|, v189                        // 000000003420: D1D303BD 06F63318
	v_max3_f32 v189, |v26|, |v27|, v189                        // 000000003428: D1D303BD 06F6371A
	v_max3_f32 v189, |v28|, |v29|, v189                        // 000000003430: D1D303BD 06F63B1C
	v_max3_f32 v189, |v30|, |v31|, v189                        // 000000003438: D1D303BD 06F63F1E
	v_mov_b32_e32 v190, 0x358637bd                             // 000000003440: 7F7C02FF 358637BD
	v_max3_f32 v190, |v32|, |v33|, v190                        // 000000003448: D1D303BE 06FA4320
	v_max3_f32 v190, |v34|, |v35|, v190                        // 000000003450: D1D303BE 06FA4722
	v_max3_f32 v190, |v36|, |v37|, v190                        // 000000003458: D1D303BE 06FA4B24
	v_max3_f32 v190, |v38|, |v39|, v190                        // 000000003460: D1D303BE 06FA4F26
	v_max_f32_dpp v188, v188, v188 row_shl:8 row_mask:0xf bank_mask:0xf bound_ctrl:1// 000000003468: 177978FA FF0908BC
	v_max_f32_dpp v189, v189, v189 row_shl:8 row_mask:0xf bank_mask:0xf bound_ctrl:1// 000000003470: 177B7AFA FF0908BD
	v_max_f32_dpp v190, v190, v190 row_shl:8 row_mask:0xf bank_mask:0xf bound_ctrl:1// 000000003478: 177D7CFA FF0908BE
	v_max_f32_dpp v188, v188, v188 row_shl:4 row_mask:0xf bank_mask:0xf bound_ctrl:1// 000000003480: 177978FA FF0904BC
	v_max_f32_dpp v189, v189, v189 row_shl:4 row_mask:0xf bank_mask:0xf bound_ctrl:1// 000000003488: 177B7AFA FF0904BD
	v_max_f32_dpp v190, v190, v190 row_shl:4 row_mask:0xf bank_mask:0xf bound_ctrl:1// 000000003490: 177D7CFA FF0904BE
	v_max_f32_dpp v188, v188, v188 row_shl:2 row_mask:0xf bank_mask:0xf bound_ctrl:1// 000000003498: 177978FA FF0902BC
	v_max_f32_dpp v189, v189, v189 row_shl:2 row_mask:0xf bank_mask:0xf bound_ctrl:1// 0000000034A0: 177B7AFA FF0902BD
	v_max_f32_dpp v190, v190, v190 row_shl:2 row_mask:0xf bank_mask:0xf bound_ctrl:1// 0000000034A8: 177D7CFA FF0902BE
	v_max_f32_dpp v188, v188, v188 row_shl:1 row_mask:0xf bank_mask:0xf bound_ctrl:1// 0000000034B0: 177978FA FF0901BC
	v_max_f32_dpp v189, v189, v189 row_shl:1 row_mask:0xf bank_mask:0xf bound_ctrl:1// 0000000034B8: 177B7AFA FF0901BD
	v_max_f32_dpp v190, v190, v190 row_shl:1 row_mask:0xf bank_mask:0xf bound_ctrl:1// 0000000034C0: 177D7CFA FF0901BE
	ds_write_b128 v246, v[188:191] offset:4096                 // 0000000034C8: D9BE1000 0000BCF6
	s_waitcnt lgkmcnt(0)                                       // 0000000034D0: BF8CC07F
	s_barrier                                                  // 0000000034D4: BF8A0000
	ds_read_b128 v[188:191], v248 offset:4096                  // 0000000034D8: D9FE1000 BC0000F8
	s_waitcnt lgkmcnt(0)                                       // 0000000034E0: BF8CC07F
	v_rcp_f32_e32 v188, v188                                   // 0000000034E4: 7F7845BC
	v_rcp_f32_e32 v189, v189                                   // 0000000034E8: 7F7A45BD
	v_rcp_f32_e32 v190, v190                                   // 0000000034EC: 7F7C45BE
	v_mul_f32_e32 v188, 0x43700000, v188                       // 0000000034F0: 0B7978FF 43700000
	v_mul_f32_e32 v189, 0x43700000, v189                       // 0000000034F8: 0B7B7AFF 43700000
	v_mul_f32_e32 v190, 0x43700000, v190                       // 000000003500: 0B7D7CFF 43700000
	s_lshl_b32 s54, s57, 2                                     // 000000003508: 8E368239
	v_lshrrev_b32_e32 v171, 4, v0                              // 00000000350C: 21560084
	v_add_u32_e32 v171, s54, v171                              // 000000003510: 69575636
	v_lshlrev_b32_e32 v171, 2, v171                            // 000000003514: 25575682
	ds_bpermute_b32 v168, v171, v188                           // 000000003518: D87E0000 A800BCAB
	ds_bpermute_b32 v169, v171, v189                           // 000000003520: D87E0000 A900BDAB
	ds_bpermute_b32 v170, v171, v190                           // 000000003528: D87E0000 AA00BEAB
	v_mov_b32_dpp v172, v190 row_shr:8 row_mask:0xf bank_mask:0xf// 000000003530: 7F5802FA FF0118BE
	v_cndmask_b32_e64 v190, v190, v172, s[0:1]                 // 000000003538: D10000BE 000359BE
	v_rcp_f32_e32 v148, v188                                   // 000000003540: 7F2845BC
	v_rcp_f32_e32 v150, v189                                   // 000000003544: 7F2C45BD
	v_rcp_f32_e32 v152, v190                                   // 000000003548: 7F3045BE
	v_mov_b32_e32 v149, v148                                   // 00000000354C: 7F2A0394
	v_mov_b32_e32 v151, v150                                   // 000000003550: 7F2E0396
	v_mov_b32_e32 v153, v152                                   // 000000003554: 7F320398
	s_waitcnt lgkmcnt(0)                                       // 000000003558: BF8CC07F
	v_mul_f32_e32 v16, v16, v168                               // 00000000355C: 0A215110
	v_mul_f32_e32 v17, v17, v168                               // 000000003560: 0A235111
	v_mul_f32_e32 v18, v18, v168                               // 000000003564: 0A255112
	v_mul_f32_e32 v19, v19, v168                               // 000000003568: 0A275113
	v_mul_f32_e32 v20, v20, v168                               // 00000000356C: 0A295114
	v_mul_f32_e32 v21, v21, v168                               // 000000003570: 0A2B5115
	v_mul_f32_e32 v22, v22, v168                               // 000000003574: 0A2D5116
	v_mul_f32_e32 v23, v23, v168                               // 000000003578: 0A2F5117
	v_mul_f32_e32 v24, v24, v169                               // 00000000357C: 0A315318
	v_mul_f32_e32 v25, v25, v169                               // 000000003580: 0A335319
	v_mul_f32_e32 v26, v26, v169                               // 000000003584: 0A35531A
	v_mul_f32_e32 v27, v27, v169                               // 000000003588: 0A37531B
	v_mul_f32_e32 v28, v28, v169                               // 00000000358C: 0A39531C
	v_mul_f32_e32 v29, v29, v169                               // 000000003590: 0A3B531D
	v_mul_f32_e32 v30, v30, v169                               // 000000003594: 0A3D531E
	v_mul_f32_e32 v31, v31, v169                               // 000000003598: 0A3F531F
	v_mul_f32_e32 v32, v32, v170                               // 00000000359C: 0A415520
	v_mul_f32_e32 v33, v33, v170                               // 0000000035A0: 0A435521
	v_mul_f32_e32 v34, v34, v170                               // 0000000035A4: 0A455522
	v_mul_f32_e32 v35, v35, v170                               // 0000000035A8: 0A475523
	v_mul_f32_e32 v36, v36, v170                               // 0000000035AC: 0A495524
	v_mul_f32_e32 v37, v37, v170                               // 0000000035B0: 0A4B5525
	v_mul_f32_e32 v38, v38, v170                               // 0000000035B4: 0A4D5526
	v_mul_f32_e32 v39, v39, v170                               // 0000000035B8: 0A4F5527
	v_cvt_pk_fp8_f32 v16, v16, v17                             // 0000000035BC: D2A20010 00022310
	v_cvt_pk_fp8_f32 v16, v18, v19 op_sel:[0,0,1]              // 0000000035C4: D2A24010 00022712
	v_cvt_pk_fp8_f32 v17, v20, v21                             // 0000000035CC: D2A20011 00022B14
	v_cvt_pk_fp8_f32 v17, v22, v23 op_sel:[0,0,1]              // 0000000035D4: D2A24011 00022F16
	v_cvt_pk_fp8_f32 v18, v24, v25                             // 0000000035DC: D2A20012 00023318
	v_cvt_pk_fp8_f32 v18, v26, v27 op_sel:[0,0,1]              // 0000000035E4: D2A24012 0002371A
	v_cvt_pk_fp8_f32 v19, v28, v29                             // 0000000035EC: D2A20013 00023B1C
	v_cvt_pk_fp8_f32 v19, v30, v31 op_sel:[0,0,1]              // 0000000035F4: D2A24013 00023F1E
	v_cvt_pk_fp8_f32 v20, v32, v33                             // 0000000035FC: D2A20014 00024320
	v_cvt_pk_fp8_f32 v20, v34, v35 op_sel:[0,0,1]              // 000000003604: D2A24014 00024722
	v_cvt_pk_fp8_f32 v21, v36, v37                             // 00000000360C: D2A20015 00024B24
	v_cvt_pk_fp8_f32 v21, v38, v39 op_sel:[0,0,1]              // 000000003614: D2A24015 00024F26
	v_and_b32_e32 v20, s100, v20                               // 00000000361C: 26282864
	v_and_b32_e32 v21, s100, v21                               // 000000003620: 262A2A64
	ds_write_b64 v247, v[16:17] offset:8192                    // 000000003624: D89A2000 000010F7
	ds_write_b64 v247, v[18:19] offset:10496                   // 00000000362C: D89A2900 000012F7
	ds_write_b64 v247, v[20:21] offset:12800                   // 000000003634: D89A3200 000014F7
	s_waitcnt lgkmcnt(0)                                       // 00000000363C: BF8CC07F
	s_barrier                                                  // 000000003640: BF8A0000
	ds_read_b128 a[0:3], v249 offset:8192                      // 000000003644: DBFE2000 000000F9
	ds_read_b128 a[4:7], v249 offset:8256                      // 00000000364C: DBFE2040 040000F9
	ds_read_b128 a[8:11], v249 offset:10496                    // 000000003654: DBFE2900 080000F9
	ds_read_b128 a[12:15], v249 offset:10560                   // 00000000365C: DBFE2940 0C0000F9
	ds_read_b128 a[16:19], v249 offset:12800                   // 000000003664: DBFE3200 100000F9
	ds_read_b128 a[20:23], v249 offset:12864                   // 00000000366C: DBFE3240 140000F9
	s_waitcnt lgkmcnt(0)                                       // 000000003674: BF8CC07F
	s_cmp_lt_i32 s57, 2                                        // 000000003678: BF048239
	s_cbranch_scc0 label_0B54                                  // 00000000367C: BF840734

0000000000003680 <label_0420>:
	s_cmp_lt_i32 s64, s63                                      // 000000003680: BF043F40
	s_cbranch_scc0 label_1288                                  // 000000003684: BF840E66
	s_waitcnt vmcnt(10)                                        // 000000003688: BF8C0F7A
	s_lshl_b32 s68, s76, 2                                     // 00000000368C: 8E44824C
	s_cmp_lt_u32 s76, s77                                      // 000000003690: BF0A4D4C
	s_cselect_b32 s68, s68, 0                                  // 000000003694: 85448044
	s_addk_i32 s76, 0x1                                        // 000000003698: B74C0001
	s_load_dword s59, s[42:43], s68                            // 00000000369C: C0000ED5 00000044
	s_waitcnt lgkmcnt(0)                                       // 0000000036A4: BF8CC07F
	s_mul_i32 s69, s59, s50                                    // 0000000036A8: 9245323B
	s_mul_i32 s71, s59, s66                                    // 0000000036AC: 9247423B
	s_mul_i32 s54, s78, s51                                    // 0000000036B0: 9236334E
	s_add_u32 s69, s69, s54                                    // 0000000036B4: 80453645
	s_mov_b32 s70, s69                                         // 0000000036B8: BEC60045
	s_mul_i32 s54, s78, 4                                      // 0000000036BC: 9236844E
	s_add_u32 s71, s71, s54                                    // 0000000036C0: 80473647
	s_add_u32 s12, s86, s69                                    // 0000000036C4: 800C4556
	s_addc_u32 s13, s87, 0                                     // 0000000036C8: 820D8057
	s_add_u32 s16, s88, s70                                    // 0000000036CC: 80104658
	s_addc_u32 s17, s89, 0                                     // 0000000036D0: 82118059
	s_add_u32 s20, s90, s71                                    // 0000000036D4: 8014475A
	s_addc_u32 s21, s91, 0                                     // 0000000036D8: 8215805B
	s_add_u32 s24, s92, s71                                    // 0000000036DC: 8018475C
	s_addc_u32 s25, s93, 0                                     // 0000000036E0: 8219805D
	v_mfma_f32_16x16x32_fp8_fp8 v[4:7], a[24:25], a[0:1], 0    // 0000000036E4: D3F30004 1A020118
	v_mfma_f32_16x16x32_fp8_fp8 v[4:7], a[26:27], a[2:3], v[4:7]// 0000000036EC: D3F30004 1C12051A
	v_mfma_f32_16x16x32_fp8_fp8 v[4:7], a[28:29], a[4:5], v[4:7]// 0000000036F4: D3F30004 1C12091C
	buffer_load_dwordx4 a[56:59], v232, s[12:15], 0 offen      // 0000000036FC: E05C1000 808338E8
	v_mfma_f32_16x16x32_fp8_fp8 v[4:7], a[30:31], a[6:7], v[4:7]// 000000003704: D3F30004 1C120D1E
	v_mfma_f32_16x16x32_fp8_fp8 v[8:11], a[32:33], a[0:1], 0   // 00000000370C: D3F30008 1A020120
	v_mfma_f32_16x16x32_fp8_fp8 v[8:11], a[34:35], a[2:3], v[8:11]// 000000003714: D3F30008 1C220522
	v_mfma_f32_16x16x32_fp8_fp8 v[8:11], a[36:37], a[4:5], v[8:11]// 00000000371C: D3F30008 1C220924
	buffer_load_dwordx4 a[60:63], v233, s[12:15], 0 offen      // 000000003724: E05C1000 80833CE9
	v_mfma_f32_16x16x32_fp8_fp8 v[8:11], a[38:39], a[6:7], v[8:11]// 00000000372C: D3F30008 1C220D26
	v_mfma_f32_16x16x32_fp8_fp8 v[12:15], a[40:41], a[0:1], 0  // 000000003734: D3F3000C 1A020128
	v_mfma_f32_16x16x32_fp8_fp8 v[12:15], a[42:43], a[2:3], v[12:15]// 00000000373C: D3F3000C 1C32052A
	v_mfma_f32_16x16x32_fp8_fp8 v[12:15], a[44:45], a[4:5], v[12:15]// 000000003744: D3F3000C 1C32092C
	buffer_load_dwordx4 a[64:67], v232, s[12:15], 0 offen offset:1024// 00000000374C: E05C1400 808340E8
	v_mfma_f32_16x16x32_fp8_fp8 v[12:15], a[46:47], a[6:7], v[12:15]// 000000003754: D3F3000C 1C320D2E
	v_mfma_f32_16x16x32_fp8_fp8 v[16:19], a[48:49], a[0:1], 0  // 00000000375C: D3F30010 1A020130
	v_mfma_f32_16x16x32_fp8_fp8 v[16:19], a[50:51], a[2:3], v[16:19]// 000000003764: D3F30010 1C420532
	v_mfma_f32_16x16x32_fp8_fp8 v[16:19], a[52:53], a[4:5], v[16:19]// 00000000376C: D3F30010 1C420934
	buffer_load_dwordx4 a[68:71], v233, s[12:15], 0 offen offset:1024// 000000003774: E05C1400 808344E9
	v_mfma_f32_16x16x32_fp8_fp8 v[16:19], a[54:55], a[6:7], v[16:19]// 00000000377C: D3F30010 1C420D36
	v_mfma_f32_16x16x32_fp8_fp8 v[20:23], a[24:25], a[8:9], 0  // 000000003784: D3F30014 1A021118
	v_mfma_f32_16x16x32_fp8_fp8 v[20:23], a[26:27], a[10:11], v[20:23]// 00000000378C: D3F30014 1C52151A
	v_mfma_f32_16x16x32_fp8_fp8 v[20:23], a[28:29], a[12:13], v[20:23]// 000000003794: D3F30014 1C52191C
	buffer_load_dwordx4 a[72:75], v232, s[12:15], 0 offen offset:2048// 00000000379C: E05C1800 808348E8
	v_mfma_f32_16x16x32_fp8_fp8 v[20:23], a[30:31], a[14:15], v[20:23]// 0000000037A4: D3F30014 1C521D1E
	v_mfma_f32_16x16x32_fp8_fp8 v[24:27], a[32:33], a[8:9], 0  // 0000000037AC: D3F30018 1A021120
	v_mfma_f32_16x16x32_fp8_fp8 v[24:27], a[34:35], a[10:11], v[24:27]// 0000000037B4: D3F30018 1C621522
	v_mfma_f32_16x16x32_fp8_fp8 v[24:27], a[36:37], a[12:13], v[24:27]// 0000000037BC: D3F30018 1C621924
	buffer_load_dwordx4 a[76:79], v233, s[12:15], 0 offen offset:2048// 0000000037C4: E05C1800 80834CE9
	v_mfma_f32_16x16x32_fp8_fp8 v[24:27], a[38:39], a[14:15], v[24:27]// 0000000037CC: D3F30018 1C621D26
	v_mfma_f32_16x16x32_fp8_fp8 v[28:31], a[40:41], a[8:9], 0  // 0000000037D4: D3F3001C 1A021128
	v_mfma_f32_16x16x32_fp8_fp8 v[28:31], a[42:43], a[10:11], v[28:31]// 0000000037DC: D3F3001C 1C72152A
	v_mfma_f32_16x16x32_fp8_fp8 v[28:31], a[44:45], a[12:13], v[28:31]// 0000000037E4: D3F3001C 1C72192C
	buffer_load_dwordx4 a[80:83], v232, s[12:15], 0 offen offset:3072// 0000000037EC: E05C1C00 808350E8
	v_mfma_f32_16x16x32_fp8_fp8 v[28:31], a[46:47], a[14:15], v[28:31]// 0000000037F4: D3F3001C 1C721D2E
	v_mfma_f32_16x16x32_fp8_fp8 v[32:35], a[48:49], a[8:9], 0  // 0000000037FC: D3F30020 1A021130
	v_mfma_f32_16x16x32_fp8_fp8 v[32:35], a[50:51], a[10:11], v[32:35]// 000000003804: D3F30020 1C821532
	v_mfma_f32_16x16x32_fp8_fp8 v[32:35], a[52:53], a[12:13], v[32:35]// 00000000380C: D3F30020 1C821934
	buffer_load_dwordx4 a[84:87], v233, s[12:15], 0 offen offset:3072// 000000003814: E05C1C00 808354E9
	v_mfma_f32_16x16x32_fp8_fp8 v[32:35], a[54:55], a[14:15], v[32:35]// 00000000381C: D3F30020 1C821D36
	v_mfma_f32_16x16x32_fp8_fp8 v[36:39], a[24:25], a[16:17], 0// 000000003824: D3F30024 1A022118
	v_mfma_f32_16x16x32_fp8_fp8 v[36:39], a[26:27], a[18:19], v[36:39]// 00000000382C: D3F30024 1C92251A
	v_mfma_f32_16x16x32_fp8_fp8 v[36:39], a[28:29], a[20:21], v[36:39]// 000000003834: D3F30024 1C92291C
	v_mfma_f32_16x16x32_fp8_fp8 v[36:39], a[30:31], a[22:23], v[36:39]// 00000000383C: D3F30024 1C922D1E
	v_mfma_f32_16x16x32_fp8_fp8 v[40:43], a[32:33], a[16:17], 0// 000000003844: D3F30028 1A022120
	v_mfma_f32_16x16x32_fp8_fp8 v[40:43], a[34:35], a[18:19], v[40:43]// 00000000384C: D3F30028 1CA22522
	v_mfma_f32_16x16x32_fp8_fp8 v[40:43], a[36:37], a[20:21], v[40:43]// 000000003854: D3F30028 1CA22924
	v_mfma_f32_16x16x32_fp8_fp8 v[40:43], a[38:39], a[22:23], v[40:43]// 00000000385C: D3F30028 1CA22D26
	v_mfma_f32_16x16x32_fp8_fp8 v[44:47], a[40:41], a[16:17], 0// 000000003864: D3F3002C 1A022128
	v_mfma_f32_16x16x32_fp8_fp8 v[44:47], a[42:43], a[18:19], v[44:47]// 00000000386C: D3F3002C 1CB2252A
	v_mfma_f32_16x16x32_fp8_fp8 v[44:47], a[44:45], a[20:21], v[44:47]// 000000003874: D3F3002C 1CB2292C
	v_mfma_f32_16x16x32_fp8_fp8 v[44:47], a[46:47], a[22:23], v[44:47]// 00000000387C: D3F3002C 1CB22D2E
	v_mfma_f32_16x16x32_fp8_fp8 v[48:51], a[48:49], a[16:17], 0// 000000003884: D3F30030 1A022130
	v_mfma_f32_16x16x32_fp8_fp8 v[48:51], a[50:51], a[18:19], v[48:51]// 00000000388C: D3F30030 1CC22532
	v_mfma_f32_16x16x32_fp8_fp8 v[48:51], a[52:53], a[20:21], v[48:51]// 000000003894: D3F30030 1CC22934
	v_mfma_f32_16x16x32_fp8_fp8 v[48:51], a[54:55], a[22:23], v[48:51]// 00000000389C: D3F30030 1CC22D36
	s_waitcnt vmcnt(16)                                        // 0000000038A4: BF8C4F70
	v_or_b32_dpp v36, v44, v36 row_shr:8 row_mask:0xf bank_mask:0xf bound_ctrl:1// 0000000038A8: 284848FA FF09182C
	v_or_b32_dpp v37, v45, v37 row_shr:8 row_mask:0xf bank_mask:0xf bound_ctrl:1// 0000000038B0: 284A4AFA FF09182D
	v_or_b32_dpp v38, v46, v38 row_shr:8 row_mask:0xf bank_mask:0xf bound_ctrl:1// 0000000038B8: 284C4CFA FF09182E
	v_or_b32_dpp v39, v47, v39 row_shr:8 row_mask:0xf bank_mask:0xf bound_ctrl:1// 0000000038C0: 284E4EFA FF09182F
	v_or_b32_dpp v40, v48, v40 row_shr:8 row_mask:0xf bank_mask:0xf bound_ctrl:1// 0000000038C8: 285050FA FF091830
	v_or_b32_dpp v41, v49, v41 row_shr:8 row_mask:0xf bank_mask:0xf bound_ctrl:1// 0000000038D0: 285252FA FF091831
	v_or_b32_dpp v42, v50, v42 row_shr:8 row_mask:0xf bank_mask:0xf bound_ctrl:1// 0000000038D8: 285454FA FF091832
	v_or_b32_dpp v43, v51, v43 row_shr:8 row_mask:0xf bank_mask:0xf bound_ctrl:1// 0000000038E0: 285656FA FF091833
	v_pk_mul_f32 v[4:5], v[148:149], v[4:5]                    // 0000000038E8: D3B14004 18020994
	v_pk_mul_f32 v[6:7], v[148:149], v[6:7]                    // 0000000038F0: D3B14006 18020D94
	v_pk_mul_f32 v[8:9], v[148:149], v[8:9]                    // 0000000038F8: D3B14008 18021194
	v_pk_mul_f32 v[10:11], v[148:149], v[10:11]                // 000000003900: D3B1400A 18021594
	v_pk_mul_f32 v[12:13], v[148:149], v[12:13]                // 000000003908: D3B1400C 18021994
	v_pk_mul_f32 v[14:15], v[148:149], v[14:15]                // 000000003910: D3B1400E 18021D94
	v_pk_mul_f32 v[16:17], v[148:149], v[16:17]                // 000000003918: D3B14010 18022194
	v_pk_mul_f32 v[18:19], v[148:149], v[18:19]                // 000000003920: D3B14012 18022594
	v_mul_f32_e32 v4, v154, v4                                 // 000000003928: 0A08099A
	v_mul_f32_e32 v5, v154, v5                                 // 00000000392C: 0A0A0B9A
	v_mul_f32_e32 v6, v154, v6                                 // 000000003930: 0A0C0D9A
	v_mul_f32_e32 v7, v154, v7                                 // 000000003934: 0A0E0F9A
	v_mul_f32_e32 v8, v154, v8                                 // 000000003938: 0A10119A
	v_mul_f32_e32 v9, v154, v9                                 // 00000000393C: 0A12139A
	v_mul_f32_e32 v10, v154, v10                               // 000000003940: 0A14159A
	v_mul_f32_e32 v11, v154, v11                               // 000000003944: 0A16179A
	v_mul_f32_e32 v12, v154, v12                               // 000000003948: 0A18199A
	v_mul_f32_e32 v13, v154, v13                               // 00000000394C: 0A1A1B9A
	v_mul_f32_e32 v14, v154, v14                               // 000000003950: 0A1C1D9A
	v_mul_f32_e32 v15, v154, v15                               // 000000003954: 0A1E1F9A
	v_mul_f32_e32 v16, v154, v16                               // 000000003958: 0A20219A
	v_mul_f32_e32 v17, v154, v17                               // 00000000395C: 0A22239A
	v_mul_f32_e32 v18, v154, v18                               // 000000003960: 0A24259A
	v_mul_f32_e32 v19, v154, v19                               // 000000003964: 0A26279A
	v_pk_mul_f32 v[20:21], v[150:151], v[20:21]                // 000000003968: D3B14014 18022996
	v_pk_mul_f32 v[22:23], v[150:151], v[22:23]                // 000000003970: D3B14016 18022D96
	v_pk_mul_f32 v[24:25], v[150:151], v[24:25]                // 000000003978: D3B14018 18023196
	v_pk_mul_f32 v[26:27], v[150:151], v[26:27]                // 000000003980: D3B1401A 18023596
	v_pk_mul_f32 v[28:29], v[150:151], v[28:29]                // 000000003988: D3B1401C 18023996
	v_pk_mul_f32 v[30:31], v[150:151], v[30:31]                // 000000003990: D3B1401E 18023D96
	v_pk_mul_f32 v[32:33], v[150:151], v[32:33]                // 000000003998: D3B14020 18024196
	v_pk_mul_f32 v[34:35], v[150:151], v[34:35]                // 0000000039A0: D3B14022 18024596
	v_mul_f32_e32 v20, v154, v20                               // 0000000039A8: 0A28299A
	v_mul_f32_e32 v21, v154, v21                               // 0000000039AC: 0A2A2B9A
	v_mul_f32_e32 v22, v154, v22                               // 0000000039B0: 0A2C2D9A
	v_mul_f32_e32 v23, v154, v23                               // 0000000039B4: 0A2E2F9A
	v_mul_f32_e32 v24, v154, v24                               // 0000000039B8: 0A30319A
	v_mul_f32_e32 v25, v154, v25                               // 0000000039BC: 0A32339A
	v_mul_f32_e32 v26, v154, v26                               // 0000000039C0: 0A34359A
	v_mul_f32_e32 v27, v154, v27                               // 0000000039C4: 0A36379A
	v_mul_f32_e32 v28, v154, v28                               // 0000000039C8: 0A38399A
	v_mul_f32_e32 v29, v154, v29                               // 0000000039CC: 0A3A3B9A
	v_mul_f32_e32 v30, v154, v30                               // 0000000039D0: 0A3C3D9A
	v_mul_f32_e32 v31, v154, v31                               // 0000000039D4: 0A3E3F9A
	v_mul_f32_e32 v32, v154, v32                               // 0000000039D8: 0A40419A
	v_mul_f32_e32 v33, v154, v33                               // 0000000039DC: 0A42439A
	v_mul_f32_e32 v34, v154, v34                               // 0000000039E0: 0A44459A
	v_mul_f32_e32 v35, v154, v35                               // 0000000039E4: 0A46479A
	v_pk_mul_f32 v[36:37], v[152:153], v[36:37]                // 0000000039E8: D3B14024 18024998
	v_pk_mul_f32 v[38:39], v[152:153], v[38:39]                // 0000000039F0: D3B14026 18024D98
	v_pk_mul_f32 v[40:41], v[152:153], v[40:41]                // 0000000039F8: D3B14028 18025198
	v_pk_mul_f32 v[42:43], v[152:153], v[42:43]                // 000000003A00: D3B1402A 18025598
	v_mul_f32_e32 v36, v154, v36                               // 000000003A08: 0A48499A
	v_mul_f32_e32 v37, v154, v37                               // 000000003A0C: 0A4A4B9A
	v_mul_f32_e32 v38, v154, v38                               // 000000003A10: 0A4C4D9A
	v_mul_f32_e32 v39, v154, v39                               // 000000003A14: 0A4E4F9A
	v_mul_f32_e32 v40, v154, v40                               // 000000003A18: 0A50519A
	v_mul_f32_e32 v41, v154, v41                               // 000000003A1C: 0A52539A
	v_mul_f32_e32 v42, v154, v42                               // 000000003A20: 0A54559A
	v_mul_f32_e32 v43, v154, v43                               // 000000003A24: 0A56579A
	v_mov_b32_e32 v190, v36                                    // 000000003A28: 7F7C0324
	v_max3_f32 v190, v36, v37, v190                            // 000000003A2C: D1D300BE 06FA4B24
	v_max3_f32 v190, v38, v39, v190                            // 000000003A34: D1D300BE 06FA4F26
	v_max3_f32 v190, v40, v41, v190                            // 000000003A3C: D1D300BE 06FA5328
	v_max3_f32 v190, v42, v43, v190                            // 000000003A44: D1D300BE 06FA572A
	v_mov_b32_e32 v189, v20                                    // 000000003A4C: 7F7A0314
	v_max3_f32 v189, v20, v21, v189                            // 000000003A50: D1D300BD 06F62B14
	v_max3_f32 v189, v22, v23, v189                            // 000000003A58: D1D300BD 06F62F16
	v_max3_f32 v189, v24, v25, v189                            // 000000003A60: D1D300BD 06F63318
	v_max3_f32 v189, v26, v27, v189                            // 000000003A68: D1D300BD 06F6371A
	v_max3_f32 v189, v28, v29, v189                            // 000000003A70: D1D300BD 06F63B1C
	v_max3_f32 v189, v30, v31, v189                            // 000000003A78: D1D300BD 06F63F1E
	v_max3_f32 v189, v32, v33, v189                            // 000000003A80: D1D300BD 06F64320
	v_max3_f32 v189, v34, v35, v189                            // 000000003A88: D1D300BD 06F64722
	v_mov_b32_e32 v188, v4                                     // 000000003A90: 7F780304
	v_max3_f32 v188, v4, v5, v188                              // 000000003A94: D1D300BC 06F20B04
	v_max3_f32 v188, v6, v7, v188                              // 000000003A9C: D1D300BC 06F20F06
	v_max3_f32 v188, v8, v9, v188                              // 000000003AA4: D1D300BC 06F21308
	v_max3_f32 v188, v10, v11, v188                            // 000000003AAC: D1D300BC 06F2170A
	v_max3_f32 v188, v12, v13, v188                            // 000000003AB4: D1D300BC 06F21B0C
	v_max3_f32 v188, v14, v15, v188                            // 000000003ABC: D1D300BC 06F21F0E
	v_max3_f32 v188, v16, v17, v188                            // 000000003AC4: D1D300BC 06F22310
	v_max3_f32 v188, v18, v19, v188                            // 000000003ACC: D1D300BC 06F22712
	v_max_f32_dpp v190, v190, v190 row_ror:8 row_mask:0xf bank_mask:0xf// 000000003AD4: 177D7CFA FF0128BE
	ds_bpermute_b32 v172, v212, v188                           // 000000003ADC: D87E0000 AC00BCD4
	ds_bpermute_b32 v173, v213, v188                           // 000000003AE4: D87E0000 AD00BCD5
	ds_bpermute_b32 v174, v214, v188                           // 000000003AEC: D87E0000 AE00BCD6
	ds_bpermute_b32 v175, v212, v189                           // 000000003AF4: D87E0000 AF00BDD4
	ds_bpermute_b32 v176, v213, v189                           // 000000003AFC: D87E0000 B000BDD5
	ds_bpermute_b32 v177, v214, v189                           // 000000003B04: D87E0000 B100BDD6
	ds_bpermute_b32 v178, v212, v190                           // 000000003B0C: D87E0000 B200BED4
	ds_bpermute_b32 v179, v213, v190                           // 000000003B14: D87E0000 B300BED5
	ds_bpermute_b32 v180, v214, v190                           // 000000003B1C: D87E0000 B400BED6
	v_pk_mul_f32 v[124:125], v[200:201], v[124:125]            // 000000003B24: D3B1407C 1802F9C8
	v_pk_mul_f32 v[126:127], v[200:201], v[126:127]            // 000000003B2C: D3B1407E 1802FDC8
	v_pk_mul_f32 v[128:129], v[200:201], v[128:129]            // 000000003B34: D3B14080 180301C8
	v_pk_mul_f32 v[130:131], v[200:201], v[130:131]            // 000000003B3C: D3B14082 180305C8
	v_pk_mul_f32 v[132:133], v[202:203], v[132:133]            // 000000003B44: D3B14084 180309CA
	v_pk_mul_f32 v[134:135], v[202:203], v[134:135]            // 000000003B4C: D3B14086 18030DCA
	v_pk_mul_f32 v[136:137], v[202:203], v[136:137]            // 000000003B54: D3B14088 180311CA
	v_pk_mul_f32 v[138:139], v[202:203], v[138:139]            // 000000003B5C: D3B1408A 180315CA
	v_pk_mul_f32 v[140:141], v[204:205], v[140:141]            // 000000003B64: D3B1408C 180319CC
	v_pk_mul_f32 v[142:143], v[204:205], v[142:143]            // 000000003B6C: D3B1408E 18031DCC
	v_pk_mul_f32 v[144:145], v[204:205], v[144:145]            // 000000003B74: D3B14090 180321CC
	v_pk_mul_f32 v[146:147], v[204:205], v[146:147]            // 000000003B7C: D3B14092 180325CC
	s_waitcnt lgkmcnt(6)                                       // 000000003B84: BF8CC67F
	v_max3_f32 v188, v172, v173, v188                          // 000000003B88: D1D300BC 06F35BAC
	v_max_f32_e32 v188, v174, v188                             // 000000003B90: 177979AE
	s_waitcnt lgkmcnt(3)                                       // 000000003B94: BF8CC37F
	v_max3_f32 v189, v175, v176, v189                          // 000000003B98: D1D300BD 06F761AF
	v_max_f32_e32 v189, v177, v189                             // 000000003BA0: 177B7BB1
	s_waitcnt lgkmcnt(0)                                       // 000000003BA4: BF8CC07F
	v_max3_f32 v190, v178, v179, v190                          // 000000003BA8: D1D300BE 06FB67B2
	v_max_f32_e32 v190, v180, v190                             // 000000003BB0: 177D7DB4
	ds_write_b128 v252, v[188:191]                             // 000000003BB4: D9BE0000 0000BCFC
	s_waitcnt lgkmcnt(0)                                       // 000000003BBC: BF8CC07F
	s_barrier                                                  // 000000003BC0: BF8A0000
	ds_read_b128 v[172:175], v253                              // 000000003BC4: D9FE0000 AC0000FD
	ds_read_b128 v[176:179], v253 offset:256                   // 000000003BCC: D9FE0100 B00000FD
	ds_read_b128 v[180:183], v253 offset:512                   // 000000003BD4: D9FE0200 B40000FD
	ds_read_b128 v[184:187], v253 offset:768                   // 000000003BDC: D9FE0300 B80000FD
	v_pk_mul_f32 v[100:101], v[158:159], v[100:101]            // 000000003BE4: D3B14064 1802C99E
	v_pk_mul_f32 v[102:103], v[158:159], v[102:103]            // 000000003BEC: D3B14066 1802CD9E
	v_pk_mul_f32 v[104:105], v[158:159], v[104:105]            // 000000003BF4: D3B14068 1802D19E
	v_pk_mul_f32 v[106:107], v[158:159], v[106:107]            // 000000003BFC: D3B1406A 1802D59E
	v_pk_mul_f32 v[108:109], v[160:161], v[108:109]            // 000000003C04: D3B1406C 1802D9A0
	v_pk_mul_f32 v[110:111], v[160:161], v[110:111]            // 000000003C0C: D3B1406E 1802DDA0
	v_pk_mul_f32 v[112:113], v[160:161], v[112:113]            // 000000003C14: D3B14070 1802E1A0
	v_pk_mul_f32 v[114:115], v[160:161], v[114:115]            // 000000003C1C: D3B14072 1802E5A0
	v_pk_mul_f32 v[116:117], v[162:163], v[116:117]            // 000000003C24: D3B14074 1802E9A2
	v_pk_mul_f32 v[118:119], v[162:163], v[118:119]            // 000000003C2C: D3B14076 1802EDA2
	v_pk_mul_f32 v[120:121], v[162:163], v[120:121]            // 000000003C34: D3B14078 1802F1A2
	v_pk_mul_f32 v[122:123], v[162:163], v[122:123]            // 000000003C3C: D3B1407A 1802F5A2
	s_waitcnt lgkmcnt(0)                                       // 000000003C44: BF8CC07F
	v_max3_f32 v188, v172, v176, v188                          // 000000003C48: D1D300BC 06F361AC
	v_max3_f32 v189, v173, v177, v189                          // 000000003C50: D1D300BD 06F763AD
	v_max3_f32 v190, v174, v178, v190                          // 000000003C58: D1D300BE 06FB65AE
	v_max3_f32 v188, v180, v184, v188                          // 000000003C60: D1D300BC 06F371B4
	v_max3_f32 v189, v181, v185, v189                          // 000000003C68: D1D300BD 06F773B5
	v_max3_f32 v190, v182, v186, v190                          // 000000003C70: D1D300BE 06FB75B6
	v_max_f32_e32 v197, v188, v194                             // 000000003C78: 178B85BC
	v_mul_f32_e64 v168, -s46, v197                             // 000000003C7C: D10500A8 20038A2E
	v_mov_b32_e32 v169, v168                                   // 000000003C84: 7F5203A8
	v_pk_fma_f32 v[4:5], v[4:5], s[46:47], v[168:169]          // 000000003C88: D3B04004 1EA05D04
	v_pk_fma_f32 v[6:7], v[6:7], s[46:47], v[168:169]          // 000000003C90: D3B04006 1EA05D06
	v_exp_f32_e32 v4, v4                                       // 000000003C98: 7E084104
	v_exp_f32_e32 v5, v5                                       // 000000003C9C: 7E0A4105
	v_exp_f32_e32 v6, v6                                       // 000000003CA0: 7E0C4106
	v_exp_f32_e32 v7, v7                                       // 000000003CA4: 7E0E4107
	v_pk_fma_f32 v[8:9], v[8:9], s[46:47], v[168:169]          // 000000003CA8: D3B04008 1EA05D08
	v_pk_fma_f32 v[10:11], v[10:11], s[46:47], v[168:169]      // 000000003CB0: D3B0400A 1EA05D0A
	v_exp_f32_e32 v8, v8                                       // 000000003CB8: 7E104108
	v_exp_f32_e32 v9, v9                                       // 000000003CBC: 7E124109
	v_exp_f32_e32 v10, v10                                     // 000000003CC0: 7E14410A
	v_exp_f32_e32 v11, v11                                     // 000000003CC4: 7E16410B
	v_pk_fma_f32 v[12:13], v[12:13], s[46:47], v[168:169]      // 000000003CC8: D3B0400C 1EA05D0C
	v_pk_fma_f32 v[14:15], v[14:15], s[46:47], v[168:169]      // 000000003CD0: D3B0400E 1EA05D0E
	v_exp_f32_e32 v12, v12                                     // 000000003CD8: 7E18410C
	v_exp_f32_e32 v13, v13                                     // 000000003CDC: 7E1A410D
	v_exp_f32_e32 v14, v14                                     // 000000003CE0: 7E1C410E
	v_exp_f32_e32 v15, v15                                     // 000000003CE4: 7E1E410F
	v_pk_fma_f32 v[16:17], v[16:17], s[46:47], v[168:169]      // 000000003CE8: D3B04010 1EA05D10
	v_pk_fma_f32 v[18:19], v[18:19], s[46:47], v[168:169]      // 000000003CF0: D3B04012 1EA05D12
	v_exp_f32_e32 v16, v16                                     // 000000003CF8: 7E204110
	v_exp_f32_e32 v17, v17                                     // 000000003CFC: 7E224111
	v_exp_f32_e32 v18, v18                                     // 000000003D00: 7E244112
	v_exp_f32_e32 v19, v19                                     // 000000003D04: 7E264113
	v_max_f32_e32 v198, v189, v195                             // 000000003D08: 178D87BD
	v_mul_f32_e64 v168, -s46, v198                             // 000000003D0C: D10500A8 20038C2E
	v_mov_b32_e32 v169, v168                                   // 000000003D14: 7F5203A8
	v_pk_fma_f32 v[20:21], v[20:21], s[46:47], v[168:169]      // 000000003D18: D3B04014 1EA05D14
	v_pk_fma_f32 v[22:23], v[22:23], s[46:47], v[168:169]      // 000000003D20: D3B04016 1EA05D16
	v_exp_f32_e32 v20, v20                                     // 000000003D28: 7E284114
	v_exp_f32_e32 v21, v21                                     // 000000003D2C: 7E2A4115
	v_exp_f32_e32 v22, v22                                     // 000000003D30: 7E2C4116
	v_exp_f32_e32 v23, v23                                     // 000000003D34: 7E2E4117
	v_pk_fma_f32 v[24:25], v[24:25], s[46:47], v[168:169]      // 000000003D38: D3B04018 1EA05D18
	v_pk_fma_f32 v[26:27], v[26:27], s[46:47], v[168:169]      // 000000003D40: D3B0401A 1EA05D1A
	v_exp_f32_e32 v24, v24                                     // 000000003D48: 7E304118
	v_exp_f32_e32 v25, v25                                     // 000000003D4C: 7E324119
	v_exp_f32_e32 v26, v26                                     // 000000003D50: 7E34411A
	v_exp_f32_e32 v27, v27                                     // 000000003D54: 7E36411B
	v_pk_fma_f32 v[28:29], v[28:29], s[46:47], v[168:169]      // 000000003D58: D3B0401C 1EA05D1C
	v_pk_fma_f32 v[30:31], v[30:31], s[46:47], v[168:169]      // 000000003D60: D3B0401E 1EA05D1E
	v_exp_f32_e32 v28, v28                                     // 000000003D68: 7E38411C
	v_exp_f32_e32 v29, v29                                     // 000000003D6C: 7E3A411D
	v_exp_f32_e32 v30, v30                                     // 000000003D70: 7E3C411E
	v_exp_f32_e32 v31, v31                                     // 000000003D74: 7E3E411F
	v_pk_fma_f32 v[32:33], v[32:33], s[46:47], v[168:169]      // 000000003D78: D3B04020 1EA05D20
	v_pk_fma_f32 v[34:35], v[34:35], s[46:47], v[168:169]      // 000000003D80: D3B04022 1EA05D22
	v_exp_f32_e32 v32, v32                                     // 000000003D88: 7E404120
	v_exp_f32_e32 v33, v33                                     // 000000003D8C: 7E424121
	v_exp_f32_e32 v34, v34                                     // 000000003D90: 7E444122
	v_exp_f32_e32 v35, v35                                     // 000000003D94: 7E464123
	v_max_f32_e32 v199, v190, v196                             // 000000003D98: 178F89BE
	v_mul_f32_e64 v168, -s46, v199                             // 000000003D9C: D10500A8 20038E2E
	v_mov_b32_e32 v169, v168                                   // 000000003DA4: 7F5203A8
	v_pk_fma_f32 v[36:37], v[36:37], s[46:47], v[168:169]      // 000000003DA8: D3B04024 1EA05D24
	v_pk_fma_f32 v[38:39], v[38:39], s[46:47], v[168:169]      // 000000003DB0: D3B04026 1EA05D26
	v_exp_f32_e32 v36, v36                                     // 000000003DB8: 7E484124
	v_exp_f32_e32 v37, v37                                     // 000000003DBC: 7E4A4125
	v_exp_f32_e32 v38, v38                                     // 000000003DC0: 7E4C4126
	v_exp_f32_e32 v39, v39                                     // 000000003DC4: 7E4E4127
	v_pk_fma_f32 v[40:41], v[40:41], s[46:47], v[168:169]      // 000000003DC8: D3B04028 1EA05D28
	v_pk_fma_f32 v[42:43], v[42:43], s[46:47], v[168:169]      // 000000003DD0: D3B0402A 1EA05D2A
	v_exp_f32_e32 v40, v40                                     // 000000003DD8: 7E504128
	v_exp_f32_e32 v41, v41                                     // 000000003DDC: 7E524129
	v_exp_f32_e32 v42, v42                                     // 000000003DE0: 7E54412A
	v_exp_f32_e32 v43, v43                                     // 000000003DE4: 7E56412B
	v_mul_f32_e32 v52, v156, v4                                // 000000003DE8: 0A68099C
	v_mul_f32_e32 v53, v156, v5                                // 000000003DEC: 0A6A0B9C
	v_mul_f32_e32 v54, v156, v6                                // 000000003DF0: 0A6C0D9C
	v_mul_f32_e32 v55, v156, v7                                // 000000003DF4: 0A6E0F9C
	v_mul_f32_e32 v56, v156, v8                                // 000000003DF8: 0A70119C
	v_mul_f32_e32 v57, v156, v9                                // 000000003DFC: 0A72139C
	v_mul_f32_e32 v58, v156, v10                               // 000000003E00: 0A74159C
	v_mul_f32_e32 v59, v156, v11                               // 000000003E04: 0A76179C
	v_mul_f32_e32 v60, v156, v12                               // 000000003E08: 0A78199C
	v_mul_f32_e32 v61, v156, v13                               // 000000003E0C: 0A7A1B9C
	v_mul_f32_e32 v62, v156, v14                               // 000000003E10: 0A7C1D9C
	v_mul_f32_e32 v63, v156, v15                               // 000000003E14: 0A7E1F9C
	v_mul_f32_e32 v64, v156, v16                               // 000000003E18: 0A80219C
	v_mul_f32_e32 v65, v156, v17                               // 000000003E1C: 0A82239C
	v_mul_f32_e32 v66, v156, v18                               // 000000003E20: 0A84259C
	v_mul_f32_e32 v67, v156, v19                               // 000000003E24: 0A86279C
	v_mul_f32_e32 v68, v156, v20                               // 000000003E28: 0A88299C
	v_mul_f32_e32 v69, v156, v21                               // 000000003E2C: 0A8A2B9C
	v_mul_f32_e32 v70, v156, v22                               // 000000003E30: 0A8C2D9C
	v_mul_f32_e32 v71, v156, v23                               // 000000003E34: 0A8E2F9C
	v_mul_f32_e32 v72, v156, v24                               // 000000003E38: 0A90319C
	v_mul_f32_e32 v73, v156, v25                               // 000000003E3C: 0A92339C
	v_mul_f32_e32 v74, v156, v26                               // 000000003E40: 0A94359C
	v_mul_f32_e32 v75, v156, v27                               // 000000003E44: 0A96379C
	v_mul_f32_e32 v76, v156, v28                               // 000000003E48: 0A98399C
	v_mul_f32_e32 v77, v156, v29                               // 000000003E4C: 0A9A3B9C
	v_mul_f32_e32 v78, v156, v30                               // 000000003E50: 0A9C3D9C
	v_mul_f32_e32 v79, v156, v31                               // 000000003E54: 0A9E3F9C
	v_mul_f32_e32 v80, v156, v32                               // 000000003E58: 0AA0419C
	v_mul_f32_e32 v81, v156, v33                               // 000000003E5C: 0AA2439C
	v_mul_f32_e32 v82, v156, v34                               // 000000003E60: 0AA4459C
	v_mul_f32_e32 v83, v156, v35                               // 000000003E64: 0AA6479C
	v_mul_f32_e32 v84, v156, v36                               // 000000003E68: 0AA8499C
	v_mul_f32_e32 v85, v156, v37                               // 000000003E6C: 0AAA4B9C
	v_mul_f32_e32 v86, v156, v38                               // 000000003E70: 0AAC4D9C
	v_mul_f32_e32 v87, v156, v39                               // 000000003E74: 0AAE4F9C
	v_mul_f32_e32 v88, v156, v40                               // 000000003E78: 0AB0519C
	v_mul_f32_e32 v89, v156, v41                               // 000000003E7C: 0AB2539C
	v_mul_f32_e32 v90, v156, v42                               // 000000003E80: 0AB4559C
	v_mul_f32_e32 v91, v156, v43                               // 000000003E84: 0AB6579C
	buffer_load_dword v155, v238, s[20:23], 0 offen            // 000000003E88: E0501000 80059BEE
	v_sub_f32_e32 v200, v194, v197                             // 000000003E90: 05918BC2
	v_cmp_eq_u32_e64 s[98:99], v225, v194                      // 000000003E94: D0CA0062 000385E1
	v_cndmask_b32_e64 v200, v200, 0, s[98:99]                  // 000000003E9C: D10000C8 018901C8
	v_mov_b32_e32 v194, v197                                   // 000000003EA4: 7F8403C5
	v_mul_f32_e32 v200, s46, v200                              // 000000003EA8: 0B91902E
	v_exp_f32_e32 v200, v200                                   // 000000003EAC: 7F9041C8
	v_sub_f32_e32 v202, v195, v198                             // 000000003EB0: 05958DC3
	v_cmp_eq_u32_e64 s[98:99], v225, v195                      // 000000003EB4: D0CA0062 000387E1
	v_cndmask_b32_e64 v202, v202, 0, s[98:99]                  // 000000003EBC: D10000CA 018901CA
	v_mov_b32_e32 v195, v198                                   // 000000003EC4: 7F8603C6
	v_mul_f32_e32 v202, s46, v202                              // 000000003EC8: 0B95942E
	v_exp_f32_e32 v202, v202                                   // 000000003ECC: 7F9441CA
	v_sub_f32_e32 v204, v196, v199                             // 000000003ED0: 05998FC4
	v_cmp_eq_u32_e64 s[98:99], v225, v196                      // 000000003ED4: D0CA0062 000389E1
	v_cndmask_b32_e64 v204, v204, 0, s[98:99]                  // 000000003EDC: D10000CC 018901CC
	v_mov_b32_e32 v196, v199                                   // 000000003EE4: 7F8803C7
	v_mul_f32_e32 v204, s46, v204                              // 000000003EE8: 0B99982E
	v_exp_f32_e32 v204, v204                                   // 000000003EEC: 7F9841CC
	v_mov_b32_e32 v201, v200                                   // 000000003EF0: 7F9203C8
	v_mov_b32_e32 v203, v202                                   // 000000003EF4: 7F9603CA
	v_mov_b32_e32 v205, v204                                   // 000000003EF8: 7F9A03CC
	s_waitcnt lgkmcnt(0)                                       // 000000003EFC: BF8CC07F
	s_barrier                                                  // 000000003F00: BF8A0000
	buffer_load_dword v157, v239, s[24:27], 0 offen            // 000000003F04: E0501000 80069DEF
	v_mul_f32_e32 v206, v200, v206                             // 000000003F0C: 0B9D9DC8
	v_mov_b32_e32 v207, 0                                      // 000000003F10: 7F9E0280
	v_pk_add_f32 v[206:207], v[4:5], v[206:207]                // 000000003F14: D3B240CE 18039D04
	v_pk_add_f32 v[206:207], v[6:7], v[206:207]                // 000000003F1C: D3B240CE 18039D06
	v_pk_add_f32 v[206:207], v[8:9], v[206:207]                // 000000003F24: D3B240CE 18039D08
	v_pk_add_f32 v[206:207], v[10:11], v[206:207]              // 000000003F2C: D3B240CE 18039D0A
	v_pk_add_f32 v[206:207], v[12:13], v[206:207]              // 000000003F34: D3B240CE 18039D0C
	v_pk_add_f32 v[206:207], v[14:15], v[206:207]              // 000000003F3C: D3B240CE 18039D0E
	v_pk_add_f32 v[206:207], v[16:17], v[206:207]              // 000000003F44: D3B240CE 18039D10
	v_pk_add_f32 v[206:207], v[18:19], v[206:207]              // 000000003F4C: D3B240CE 18039D12
	v_add_f32_e32 v206, v207, v206                             // 000000003F54: 039D9DCF
	v_mul_f32_e32 v208, v202, v208                             // 000000003F58: 0BA1A1CA
	v_mov_b32_e32 v209, 0                                      // 000000003F5C: 7FA20280
	v_pk_add_f32 v[208:209], v[20:21], v[208:209]              // 000000003F60: D3B240D0 1803A114
	v_pk_add_f32 v[208:209], v[22:23], v[208:209]              // 000000003F68: D3B240D0 1803A116
	v_pk_add_f32 v[208:209], v[24:25], v[208:209]              // 000000003F70: D3B240D0 1803A118
	v_pk_add_f32 v[208:209], v[26:27], v[208:209]              // 000000003F78: D3B240D0 1803A11A
	v_pk_add_f32 v[208:209], v[28:29], v[208:209]              // 000000003F80: D3B240D0 1803A11C
	v_pk_add_f32 v[208:209], v[30:31], v[208:209]              // 000000003F88: D3B240D0 1803A11E
	v_pk_add_f32 v[208:209], v[32:33], v[208:209]              // 000000003F90: D3B240D0 1803A120
	v_pk_add_f32 v[208:209], v[34:35], v[208:209]              // 000000003F98: D3B240D0 1803A122
	v_add_f32_e32 v208, v209, v208                             // 000000003FA0: 03A1A1D1
	v_mul_f32_e32 v210, v204, v210                             // 000000003FA4: 0BA5A5CC
	v_mov_b32_e32 v211, 0                                      // 000000003FA8: 7FA60280
	v_pk_add_f32 v[210:211], v[36:37], v[210:211]              // 000000003FAC: D3B240D2 1803A524
	v_pk_add_f32 v[210:211], v[38:39], v[210:211]              // 000000003FB4: D3B240D2 1803A526
	v_pk_add_f32 v[210:211], v[40:41], v[210:211]              // 000000003FBC: D3B240D2 1803A528
	v_pk_add_f32 v[210:211], v[42:43], v[210:211]              // 000000003FC4: D3B240D2 1803A52A
	v_add_f32_e32 v210, v211, v210                             // 000000003FCC: 03A5A5D3
	s_waitcnt lgkmcnt(0)                                       // 000000003FD0: BF8CC07F
	v_sub_f32_e32 v188, v188, v194                             // 000000003FD4: 057985BC
	v_sub_f32_e32 v189, v189, v195                             // 000000003FD8: 057B87BD
	v_sub_f32_e32 v190, v190, v196                             // 000000003FDC: 057D89BE
	v_mul_f32_e32 v188, s46, v188                              // 000000003FE0: 0B79782E
	v_mul_f32_e32 v189, s46, v189                              // 000000003FE4: 0B7B7A2E
	v_mul_f32_e32 v190, s46, v190                              // 000000003FE8: 0B7D7C2E
	v_exp_f32_e32 v188, v188                                   // 000000003FEC: 7F7841BC
	v_exp_f32_e32 v189, v189                                   // 000000003FF0: 7F7A41BD
	v_exp_f32_e32 v190, v190                                   // 000000003FF4: 7F7C41BE
	v_mul_f32_e32 v188, v156, v188                             // 000000003FF8: 0B79799C
	v_mul_f32_e32 v189, v156, v189                             // 000000003FFC: 0B7B7B9C
	v_mul_f32_e32 v190, v156, v190                             // 000000004000: 0B7D7D9C
	v_add_f32_e32 v188, 0x3089705f, v188                       // 000000004004: 037978FF 3089705F
	v_add_f32_e32 v189, 0x3089705f, v189                       // 00000000400C: 037B7AFF 3089705F
	v_add_f32_e32 v190, 0x3089705f, v190                       // 000000004014: 037D7CFF 3089705F
	v_rcp_f32_e32 v188, v188                                   // 00000000401C: 7F7845BC
	v_rcp_f32_e32 v189, v189                                   // 000000004020: 7F7A45BD
	v_rcp_f32_e32 v190, v190                                   // 000000004024: 7F7C45BE
	v_mul_f32_e32 v188, 0x43700000, v188                       // 000000004028: 0B7978FF 43700000
	v_mul_f32_e32 v189, 0x43700000, v189                       // 000000004030: 0B7B7AFF 43700000
	v_mul_f32_e32 v190, 0x43700000, v190                       // 000000004038: 0B7D7CFF 43700000
	v_mov_b32_e32 v192, v190                                   // 000000004040: 7F8003BE
	v_mov_b32_e32 v193, v190                                   // 000000004044: 7F8203BE
	v_mov_b32_e32 v190, v189                                   // 000000004048: 7F7C03BD
	v_mov_b32_e32 v191, v189                                   // 00000000404C: 7F7E03BD
	v_mov_b32_e32 v189, v188                                   // 000000004050: 7F7A03BC
	v_pk_mul_f32 v[4:5], v[188:189], v[52:53]                  // 000000004054: D3B14004 180269BC
	v_pk_mul_f32 v[6:7], v[188:189], v[54:55]                  // 00000000405C: D3B14006 18026DBC
	v_pk_mul_f32 v[8:9], v[188:189], v[56:57]                  // 000000004064: D3B14008 180271BC
	v_pk_mul_f32 v[10:11], v[188:189], v[58:59]                // 00000000406C: D3B1400A 180275BC
	v_pk_mul_f32 v[12:13], v[188:189], v[60:61]                // 000000004074: D3B1400C 180279BC
	v_pk_mul_f32 v[14:15], v[188:189], v[62:63]                // 00000000407C: D3B1400E 18027DBC
	v_pk_mul_f32 v[16:17], v[188:189], v[64:65]                // 000000004084: D3B14010 180281BC
	v_pk_mul_f32 v[18:19], v[188:189], v[66:67]                // 00000000408C: D3B14012 180285BC
	v_pk_mul_f32 v[20:21], v[190:191], v[68:69]                // 000000004094: D3B14014 180289BE
	v_pk_mul_f32 v[22:23], v[190:191], v[70:71]                // 00000000409C: D3B14016 18028DBE
	v_pk_mul_f32 v[24:25], v[190:191], v[72:73]                // 0000000040A4: D3B14018 180291BE
	v_pk_mul_f32 v[26:27], v[190:191], v[74:75]                // 0000000040AC: D3B1401A 180295BE
	v_pk_mul_f32 v[28:29], v[190:191], v[76:77]                // 0000000040B4: D3B1401C 180299BE
	v_pk_mul_f32 v[30:31], v[190:191], v[78:79]                // 0000000040BC: D3B1401E 18029DBE
	v_pk_mul_f32 v[32:33], v[190:191], v[80:81]                // 0000000040C4: D3B14020 1802A1BE
	v_pk_mul_f32 v[34:35], v[190:191], v[82:83]                // 0000000040CC: D3B14022 1802A5BE
	v_pk_mul_f32 v[36:37], v[192:193], v[84:85]                // 0000000040D4: D3B14024 1802A9C0
	v_pk_mul_f32 v[38:39], v[192:193], v[86:87]                // 0000000040DC: D3B14026 1802ADC0
	v_pk_mul_f32 v[40:41], v[192:193], v[88:89]                // 0000000040E4: D3B14028 1802B1C0
	v_pk_mul_f32 v[42:43], v[192:193], v[90:91]                // 0000000040EC: D3B1402A 1802B5C0
	v_cvt_pk_fp8_f32 v4, v4, v5                                // 0000000040F4: D2A20004 00020B04
	v_cvt_pk_fp8_f32 v4, v6, v7 op_sel:[0,0,1]                 // 0000000040FC: D2A24004 00020F06
	v_cvt_pk_fp8_f32 v5, v8, v9                                // 000000004104: D2A20005 00021308
	v_cvt_pk_fp8_f32 v5, v10, v11 op_sel:[0,0,1]               // 00000000410C: D2A24005 0002170A
	v_cvt_pk_fp8_f32 v6, v12, v13                              // 000000004114: D2A20006 00021B0C
	v_cvt_pk_fp8_f32 v6, v14, v15 op_sel:[0,0,1]               // 00000000411C: D2A24006 00021F0E
	v_cvt_pk_fp8_f32 v7, v16, v17                              // 000000004124: D2A20007 00022310
	v_cvt_pk_fp8_f32 v7, v18, v19 op_sel:[0,0,1]               // 00000000412C: D2A24007 00022712
	v_cvt_pk_fp8_f32 v8, v20, v21                              // 000000004134: D2A20008 00022B14
	v_cvt_pk_fp8_f32 v8, v22, v23 op_sel:[0,0,1]               // 00000000413C: D2A24008 00022F16
	v_cvt_pk_fp8_f32 v9, v24, v25                              // 000000004144: D2A20009 00023318
	v_cvt_pk_fp8_f32 v9, v26, v27 op_sel:[0,0,1]               // 00000000414C: D2A24009 0002371A
	v_cvt_pk_fp8_f32 v10, v28, v29                             // 000000004154: D2A2000A 00023B1C
	v_cvt_pk_fp8_f32 v10, v30, v31 op_sel:[0,0,1]              // 00000000415C: D2A2400A 00023F1E
	v_cvt_pk_fp8_f32 v11, v32, v33                             // 000000004164: D2A2000B 00024320
	v_cvt_pk_fp8_f32 v11, v34, v35 op_sel:[0,0,1]              // 00000000416C: D2A2400B 00024722
	v_cvt_pk_fp8_f32 v12, v36, v37                             // 000000004174: D2A2000C 00024B24
	v_cvt_pk_fp8_f32 v12, v38, v39 op_sel:[0,0,1]              // 00000000417C: D2A2400C 00024F26
	v_cvt_pk_fp8_f32 v13, v40, v41                             // 000000004184: D2A2000D 00025328
	v_cvt_pk_fp8_f32 v13, v42, v43 op_sel:[0,0,1]              // 00000000418C: D2A2400D 0002572A
	v_mov_b32_dpp v14, v12 row_shl:8 row_mask:0xf bank_mask:0xf bound_ctrl:1// 000000004194: 7E1C02FA FF09080C
	v_and_b32_e32 v12, v12, v224                               // 00000000419C: 2619C10C
	v_mov_b32_dpp v15, v13 row_shl:8 row_mask:0xf bank_mask:0xf bound_ctrl:1// 0000000041A0: 7E1E02FA FF09080D
	v_and_b32_e32 v13, v13, v224                               // 0000000041A8: 261BC10D
	ds_write_b32 v254, v4 offset:8192                          // 0000000041AC: D81A2000 000004FE
	ds_write_b32 v254, v5 offset:9216                          // 0000000041B4: D81A2400 000005FE
	ds_write_b32 v254, v6 offset:10240                         // 0000000041BC: D81A2800 000006FE
	ds_write_b32 v254, v7 offset:11264                         // 0000000041C4: D81A2C00 000007FE
	ds_write_b32 v254, v8 offset:12288                         // 0000000041CC: D81A3000 000008FE
	ds_write_b32 v254, v9 offset:13312                         // 0000000041D4: D81A3400 000009FE
	ds_write_b32 v254, v10 offset:14336                        // 0000000041DC: D81A3800 00000AFE
	ds_write_b32 v254, v11 offset:15360                        // 0000000041E4: D81A3C00 00000BFE
	ds_write_b32 v254, v12 offset:16384                        // 0000000041EC: D81A4000 00000CFE
	ds_write_b32 v254, v13 offset:17408                        // 0000000041F4: D81A4400 00000DFE
	ds_write_b32 v254, v14 offset:18432                        // 0000000041FC: D81A4800 00000EFE
	ds_write_b32 v254, v15 offset:19456                        // 000000004204: D81A4C00 00000FFE
	v_rcp_f32_e32 v158, v188                                   // 00000000420C: 7F3C45BC
	v_rcp_f32_e32 v160, v190                                   // 000000004210: 7F4045BE
	v_rcp_f32_e32 v162, v192                                   // 000000004214: 7F4445C0
	v_mov_b32_e32 v159, v158                                   // 000000004218: 7F3E039E
	v_mov_b32_e32 v161, v160                                   // 00000000421C: 7F4203A0
	v_mov_b32_e32 v163, v162                                   // 000000004220: 7F4603A2
	v_pk_add_f32 v[124:125], v[124:125], v[100:101]            // 000000004224: D3B2407C 1802C97C
	v_pk_add_f32 v[126:127], v[126:127], v[102:103]            // 00000000422C: D3B2407E 1802CD7E
	v_pk_add_f32 v[128:129], v[128:129], v[104:105]            // 000000004234: D3B24080 1802D180
	v_pk_add_f32 v[130:131], v[130:131], v[106:107]            // 00000000423C: D3B24082 1802D582
	v_pk_add_f32 v[132:133], v[132:133], v[108:109]            // 000000004244: D3B24084 1802D984
	v_pk_add_f32 v[134:135], v[134:135], v[110:111]            // 00000000424C: D3B24086 1802DD86
	v_pk_add_f32 v[136:137], v[136:137], v[112:113]            // 000000004254: D3B24088 1802E188
	v_pk_add_f32 v[138:139], v[138:139], v[114:115]            // 00000000425C: D3B2408A 1802E58A
	v_pk_add_f32 v[140:141], v[140:141], v[116:117]            // 000000004264: D3B2408C 1802E98C
	v_pk_add_f32 v[142:143], v[142:143], v[118:119]            // 00000000426C: D3B2408E 1802ED8E
	v_pk_add_f32 v[144:145], v[144:145], v[120:121]            // 000000004274: D3B24090 1802F190
	v_pk_add_f32 v[146:147], v[146:147], v[122:123]            // 00000000427C: D3B24092 1802F592
	s_waitcnt lgkmcnt(0)                                       // 000000004284: BF8CC07F
	s_barrier                                                  // 000000004288: BF8A0000
	ds_read_b128 v[4:7], v255 offset:8192                      // 00000000428C: D9FE2000 040000FF
	ds_read_b128 v[8:11], v255 offset:9216                     // 000000004294: D9FE2400 080000FF
	ds_read_b128 v[12:15], v255 offset:10240                   // 00000000429C: D9FE2800 0C0000FF
	ds_read_b128 v[16:19], v255 offset:11264                   // 0000000042A4: D9FE2C00 100000FF
	ds_read_b128 v[20:23], v255 offset:12288                   // 0000000042AC: D9FE3000 140000FF
	ds_read_b128 v[24:27], v255 offset:13312                   // 0000000042B4: D9FE3400 180000FF
	ds_read_b128 v[28:31], v255 offset:14336                   // 0000000042BC: D9FE3800 1C0000FF
	ds_read_b128 v[32:35], v255 offset:15360                   // 0000000042C4: D9FE3C00 200000FF
	ds_read_b128 v[36:39], v255 offset:16384                   // 0000000042CC: D9FE4000 240000FF
	ds_read_b128 v[40:43], v255 offset:17408                   // 0000000042D4: D9FE4400 280000FF
	ds_read_b128 v[44:47], v255 offset:18432                   // 0000000042DC: D9FE4800 2C0000FF
	ds_read_b128 v[48:51], v255 offset:19456                   // 0000000042E4: D9FE4C00 300000FF
	s_waitcnt vmcnt(10)                                        // 0000000042EC: BF8C0F7A
	s_waitcnt lgkmcnt(11)                                      // 0000000042F0: BF8CCB7F
	v_mfma_f32_16x16x32_fp8_fp8 v[100:103], a[88:89], v[4:5], 0// 0000000042F4: D3F30064 0A020958
	v_mfma_f32_16x16x32_fp8_fp8 v[104:107], a[104:105], v[4:5], 0// 0000000042FC: D3F30068 0A020968
	v_mfma_f32_16x16x32_fp8_fp8 v[100:103], a[90:91], v[6:7], v[100:103]// 000000004304: D3F30064 0D920D5A
	buffer_load_dwordx4 a[120:123], v234, s[16:19], 0 offen    // 00000000430C: E05C1000 808478EA
	v_mfma_f32_16x16x32_fp8_fp8 v[104:107], a[106:107], v[6:7], v[104:107]// 000000004314: D3F30068 0DA20D6A
	s_waitcnt lgkmcnt(10)                                      // 00000000431C: BF8CCA7F
	v_mfma_f32_16x16x32_fp8_fp8 v[100:103], a[92:93], v[8:9], v[100:103]// 000000004320: D3F30064 0D92115C
	v_mfma_f32_16x16x32_fp8_fp8 v[104:107], a[108:109], v[8:9], v[104:107]// 000000004328: D3F30068 0DA2116C
	v_mfma_f32_16x16x32_fp8_fp8 v[100:103], a[94:95], v[10:11], v[100:103]// 000000004330: D3F30064 0D92155E
	buffer_load_dwordx4 a[124:127], v235, s[16:19], 0 offen    // 000000004338: E05C1000 80847CEB
	v_mfma_f32_16x16x32_fp8_fp8 v[104:107], a[110:111], v[10:11], v[104:107]// 000000004340: D3F30068 0DA2156E
	s_waitcnt lgkmcnt(9)                                       // 000000004348: BF8CC97F
	v_mfma_f32_16x16x32_fp8_fp8 v[100:103], a[96:97], v[12:13], v[100:103]// 00000000434C: D3F30064 0D921960
	v_mfma_f32_16x16x32_fp8_fp8 v[104:107], a[112:113], v[12:13], v[104:107]// 000000004354: D3F30068 0DA21970
	v_mfma_f32_16x16x32_fp8_fp8 v[100:103], a[98:99], v[14:15], v[100:103]// 00000000435C: D3F30064 0D921D62
	buffer_load_dwordx4 a[128:131], v236, s[16:19], 0 offen    // 000000004364: E05C1000 808480EC
	v_mfma_f32_16x16x32_fp8_fp8 v[104:107], a[114:115], v[14:15], v[104:107]// 00000000436C: D3F30068 0DA21D72
	s_waitcnt lgkmcnt(8)                                       // 000000004374: BF8CC87F
	v_mfma_f32_16x16x32_fp8_fp8 v[100:103], a[100:101], v[16:17], v[100:103]// 000000004378: D3F30064 0D922164
	v_mfma_f32_16x16x32_fp8_fp8 v[104:107], a[116:117], v[16:17], v[104:107]// 000000004380: D3F30068 0DA22174
	v_mfma_f32_16x16x32_fp8_fp8 v[100:103], a[102:103], v[18:19], v[100:103]// 000000004388: D3F30064 0D922566
	buffer_load_dwordx4 a[132:135], v237, s[16:19], 0 offen    // 000000004390: E05C1000 808484ED
	v_mfma_f32_16x16x32_fp8_fp8 v[104:107], a[118:119], v[18:19], v[104:107]// 000000004398: D3F30068 0DA22576
	s_waitcnt lgkmcnt(7)                                       // 0000000043A0: BF8CC77F
	v_mfma_f32_16x16x32_fp8_fp8 v[108:111], a[88:89], v[20:21], 0// 0000000043A4: D3F3006C 0A022958
	v_mfma_f32_16x16x32_fp8_fp8 v[112:115], a[104:105], v[20:21], 0// 0000000043AC: D3F30070 0A022968
	v_mfma_f32_16x16x32_fp8_fp8 v[108:111], a[90:91], v[22:23], v[108:111]// 0000000043B4: D3F3006C 0DB22D5A
	buffer_load_dwordx4 a[136:139], v234, s[16:19], 0 offen offset:1024// 0000000043BC: E05C1400 808488EA
	v_mfma_f32_16x16x32_fp8_fp8 v[112:115], a[106:107], v[22:23], v[112:115]// 0000000043C4: D3F30070 0DC22D6A
	s_waitcnt lgkmcnt(6)                                       // 0000000043CC: BF8CC67F
	v_mfma_f32_16x16x32_fp8_fp8 v[108:111], a[92:93], v[24:25], v[108:111]// 0000000043D0: D3F3006C 0DB2315C
	v_mfma_f32_16x16x32_fp8_fp8 v[112:115], a[108:109], v[24:25], v[112:115]// 0000000043D8: D3F30070 0DC2316C
	v_mfma_f32_16x16x32_fp8_fp8 v[108:111], a[94:95], v[26:27], v[108:111]// 0000000043E0: D3F3006C 0DB2355E
	buffer_load_dwordx4 a[140:143], v235, s[16:19], 0 offen offset:1024// 0000000043E8: E05C1400 80848CEB
	v_mfma_f32_16x16x32_fp8_fp8 v[112:115], a[110:111], v[26:27], v[112:115]// 0000000043F0: D3F30070 0DC2356E
	s_waitcnt lgkmcnt(5)                                       // 0000000043F8: BF8CC57F
	v_mfma_f32_16x16x32_fp8_fp8 v[108:111], a[96:97], v[28:29], v[108:111]// 0000000043FC: D3F3006C 0DB23960
	v_mfma_f32_16x16x32_fp8_fp8 v[112:115], a[112:113], v[28:29], v[112:115]// 000000004404: D3F30070 0DC23970
	v_mfma_f32_16x16x32_fp8_fp8 v[108:111], a[98:99], v[30:31], v[108:111]// 00000000440C: D3F3006C 0DB23D62
	buffer_load_dwordx4 a[144:147], v236, s[16:19], 0 offen offset:1024// 000000004414: E05C1400 808490EC
	v_mfma_f32_16x16x32_fp8_fp8 v[112:115], a[114:115], v[30:31], v[112:115]// 00000000441C: D3F30070 0DC23D72
	s_waitcnt lgkmcnt(4)                                       // 000000004424: BF8CC47F
	v_mfma_f32_16x16x32_fp8_fp8 v[108:111], a[100:101], v[32:33], v[108:111]// 000000004428: D3F3006C 0DB24164
	v_mfma_f32_16x16x32_fp8_fp8 v[112:115], a[116:117], v[32:33], v[112:115]// 000000004430: D3F30070 0DC24174
	v_mfma_f32_16x16x32_fp8_fp8 v[108:111], a[102:103], v[34:35], v[108:111]// 000000004438: D3F3006C 0DB24566
	buffer_load_dwordx4 a[148:151], v237, s[16:19], 0 offen offset:1024// 000000004440: E05C1400 808494ED
	v_mfma_f32_16x16x32_fp8_fp8 v[112:115], a[118:119], v[34:35], v[112:115]// 000000004448: D3F30070 0DC24576
	s_waitcnt lgkmcnt(3)                                       // 000000004450: BF8CC37F
	v_mfma_f32_16x16x32_fp8_fp8 v[116:119], a[88:89], v[36:37], 0// 000000004454: D3F30074 0A024958
	v_mfma_f32_16x16x32_fp8_fp8 v[120:123], a[104:105], v[36:37], 0// 00000000445C: D3F30078 0A024968
	v_mfma_f32_16x16x32_fp8_fp8 v[116:119], a[90:91], v[38:39], v[116:119]// 000000004464: D3F30074 0DD24D5A
	v_mfma_f32_16x16x32_fp8_fp8 v[120:123], a[106:107], v[38:39], v[120:123]// 00000000446C: D3F30078 0DE24D6A
	s_waitcnt lgkmcnt(2)                                       // 000000004474: BF8CC27F
	v_mfma_f32_16x16x32_fp8_fp8 v[116:119], a[92:93], v[40:41], v[116:119]// 000000004478: D3F30074 0DD2515C
	v_mfma_f32_16x16x32_fp8_fp8 v[120:123], a[108:109], v[40:41], v[120:123]// 000000004480: D3F30078 0DE2516C
	v_mfma_f32_16x16x32_fp8_fp8 v[116:119], a[94:95], v[42:43], v[116:119]// 000000004488: D3F30074 0DD2555E
	v_mfma_f32_16x16x32_fp8_fp8 v[120:123], a[110:111], v[42:43], v[120:123]// 000000004490: D3F30078 0DE2556E
	s_waitcnt lgkmcnt(1)                                       // 000000004498: BF8CC17F
	v_mfma_f32_16x16x32_fp8_fp8 v[116:119], a[96:97], v[44:45], v[116:119]// 00000000449C: D3F30074 0DD25960
	v_mfma_f32_16x16x32_fp8_fp8 v[120:123], a[112:113], v[44:45], v[120:123]// 0000000044A4: D3F30078 0DE25970
	v_mfma_f32_16x16x32_fp8_fp8 v[116:119], a[98:99], v[46:47], v[116:119]// 0000000044AC: D3F30074 0DD25D62
	v_mfma_f32_16x16x32_fp8_fp8 v[120:123], a[114:115], v[46:47], v[120:123]// 0000000044B4: D3F30078 0DE25D72
	s_waitcnt lgkmcnt(0)                                       // 0000000044BC: BF8CC07F
	v_mfma_f32_16x16x32_fp8_fp8 v[116:119], a[100:101], v[48:49], v[116:119]// 0000000044C0: D3F30074 0DD26164
	v_mfma_f32_16x16x32_fp8_fp8 v[120:123], a[116:117], v[48:49], v[120:123]// 0000000044C8: D3F30078 0DE26174
	v_mfma_f32_16x16x32_fp8_fp8 v[116:119], a[102:103], v[50:51], v[116:119]// 0000000044D0: D3F30074 0DD26566
	v_mfma_f32_16x16x32_fp8_fp8 v[120:123], a[118:119], v[50:51], v[120:123]// 0000000044D8: D3F30078 0DE26576
	s_addk_i32 s64, 0x100                                      // 0000000044E0: B7400100
	s_branch label_07BA                                        // 0000000044E4: BF820000

00000000000044e8 <label_07BA>:
	s_cmp_lt_i32 s64, s63                                      // 0000000044E8: BF043F40
	s_cbranch_scc0 label_1949                                  // 0000000044EC: BF84118D
	s_waitcnt vmcnt(10)                                        // 0000000044F0: BF8C0F7A
	s_lshl_b32 s68, s76, 2                                     // 0000000044F4: 8E44824C
	s_cmp_lt_u32 s76, s77                                      // 0000000044F8: BF0A4D4C
	s_cselect_b32 s68, s68, 0                                  // 0000000044FC: 85448044
	s_addk_i32 s76, 0x1                                        // 000000004500: B74C0001
	s_load_dword s59, s[42:43], s68                            // 000000004504: C0000ED5 00000044
	s_waitcnt lgkmcnt(0)                                       // 00000000450C: BF8CC07F
	s_mul_i32 s69, s59, s50                                    // 000000004510: 9245323B
	s_mul_i32 s71, s59, s66                                    // 000000004514: 9247423B
	s_mul_i32 s54, s78, s51                                    // 000000004518: 9236334E
	s_add_u32 s69, s69, s54                                    // 00000000451C: 80453645
	s_mov_b32 s70, s69                                         // 000000004520: BEC60045
	s_mul_i32 s54, s78, 4                                      // 000000004524: 9236844E
	s_add_u32 s71, s71, s54                                    // 000000004528: 80473647
	s_add_u32 s12, s86, s69                                    // 00000000452C: 800C4556
	s_addc_u32 s13, s87, 0                                     // 000000004530: 820D8057
	s_add_u32 s16, s88, s70                                    // 000000004534: 80104658
	s_addc_u32 s17, s89, 0                                     // 000000004538: 82118059
	s_add_u32 s20, s90, s71                                    // 00000000453C: 8014475A
	s_addc_u32 s21, s91, 0                                     // 000000004540: 8215805B
	s_add_u32 s24, s92, s71                                    // 000000004544: 8018475C
	s_addc_u32 s25, s93, 0                                     // 000000004548: 8219805D
	v_mfma_f32_16x16x32_fp8_fp8 v[4:7], a[56:57], a[0:1], 0    // 00000000454C: D3F30004 1A020138
	v_mfma_f32_16x16x32_fp8_fp8 v[4:7], a[58:59], a[2:3], v[4:7]// 000000004554: D3F30004 1C12053A
	v_mfma_f32_16x16x32_fp8_fp8 v[4:7], a[60:61], a[4:5], v[4:7]// 00000000455C: D3F30004 1C12093C
	buffer_load_dwordx4 a[24:27], v232, s[12:15], 0 offen      // 000000004564: E05C1000 808318E8
	v_mfma_f32_16x16x32_fp8_fp8 v[4:7], a[62:63], a[6:7], v[4:7]// 00000000456C: D3F30004 1C120D3E
	v_mfma_f32_16x16x32_fp8_fp8 v[8:11], a[64:65], a[0:1], 0   // 000000004574: D3F30008 1A020140
	v_mfma_f32_16x16x32_fp8_fp8 v[8:11], a[66:67], a[2:3], v[8:11]// 00000000457C: D3F30008 1C220542
	v_mfma_f32_16x16x32_fp8_fp8 v[8:11], a[68:69], a[4:5], v[8:11]// 000000004584: D3F30008 1C220944
	buffer_load_dwordx4 a[28:31], v233, s[12:15], 0 offen      // 00000000458C: E05C1000 80831CE9
	v_mfma_f32_16x16x32_fp8_fp8 v[8:11], a[70:71], a[6:7], v[8:11]// 000000004594: D3F30008 1C220D46
	v_mfma_f32_16x16x32_fp8_fp8 v[12:15], a[72:73], a[0:1], 0  // 00000000459C: D3F3000C 1A020148
	v_mfma_f32_16x16x32_fp8_fp8 v[12:15], a[74:75], a[2:3], v[12:15]// 0000000045A4: D3F3000C 1C32054A
	v_mfma_f32_16x16x32_fp8_fp8 v[12:15], a[76:77], a[4:5], v[12:15]// 0000000045AC: D3F3000C 1C32094C
	buffer_load_dwordx4 a[32:35], v232, s[12:15], 0 offen offset:1024// 0000000045B4: E05C1400 808320E8
	v_mfma_f32_16x16x32_fp8_fp8 v[12:15], a[78:79], a[6:7], v[12:15]// 0000000045BC: D3F3000C 1C320D4E
	v_mfma_f32_16x16x32_fp8_fp8 v[16:19], a[80:81], a[0:1], 0  // 0000000045C4: D3F30010 1A020150
	v_mfma_f32_16x16x32_fp8_fp8 v[16:19], a[82:83], a[2:3], v[16:19]// 0000000045CC: D3F30010 1C420552
	v_mfma_f32_16x16x32_fp8_fp8 v[16:19], a[84:85], a[4:5], v[16:19]// 0000000045D4: D3F30010 1C420954
	buffer_load_dwordx4 a[36:39], v233, s[12:15], 0 offen offset:1024// 0000000045DC: E05C1400 808324E9
	v_mfma_f32_16x16x32_fp8_fp8 v[16:19], a[86:87], a[6:7], v[16:19]// 0000000045E4: D3F30010 1C420D56
	v_mfma_f32_16x16x32_fp8_fp8 v[20:23], a[56:57], a[8:9], 0  // 0000000045EC: D3F30014 1A021138
	v_mfma_f32_16x16x32_fp8_fp8 v[20:23], a[58:59], a[10:11], v[20:23]// 0000000045F4: D3F30014 1C52153A
	v_mfma_f32_16x16x32_fp8_fp8 v[20:23], a[60:61], a[12:13], v[20:23]// 0000000045FC: D3F30014 1C52193C
	buffer_load_dwordx4 a[40:43], v232, s[12:15], 0 offen offset:2048// 000000004604: E05C1800 808328E8
	v_mfma_f32_16x16x32_fp8_fp8 v[20:23], a[62:63], a[14:15], v[20:23]// 00000000460C: D3F30014 1C521D3E
	v_mfma_f32_16x16x32_fp8_fp8 v[24:27], a[64:65], a[8:9], 0  // 000000004614: D3F30018 1A021140
	v_mfma_f32_16x16x32_fp8_fp8 v[24:27], a[66:67], a[10:11], v[24:27]// 00000000461C: D3F30018 1C621542
	v_mfma_f32_16x16x32_fp8_fp8 v[24:27], a[68:69], a[12:13], v[24:27]// 000000004624: D3F30018 1C621944
	buffer_load_dwordx4 a[44:47], v233, s[12:15], 0 offen offset:2048// 00000000462C: E05C1800 80832CE9
	v_mfma_f32_16x16x32_fp8_fp8 v[24:27], a[70:71], a[14:15], v[24:27]// 000000004634: D3F30018 1C621D46
	v_mfma_f32_16x16x32_fp8_fp8 v[28:31], a[72:73], a[8:9], 0  // 00000000463C: D3F3001C 1A021148
	v_mfma_f32_16x16x32_fp8_fp8 v[28:31], a[74:75], a[10:11], v[28:31]// 000000004644: D3F3001C 1C72154A
	v_mfma_f32_16x16x32_fp8_fp8 v[28:31], a[76:77], a[12:13], v[28:31]// 00000000464C: D3F3001C 1C72194C
	buffer_load_dwordx4 a[48:51], v232, s[12:15], 0 offen offset:3072// 000000004654: E05C1C00 808330E8
	v_mfma_f32_16x16x32_fp8_fp8 v[28:31], a[78:79], a[14:15], v[28:31]// 00000000465C: D3F3001C 1C721D4E
	v_mfma_f32_16x16x32_fp8_fp8 v[32:35], a[80:81], a[8:9], 0  // 000000004664: D3F30020 1A021150
	v_mfma_f32_16x16x32_fp8_fp8 v[32:35], a[82:83], a[10:11], v[32:35]// 00000000466C: D3F30020 1C821552
	v_mfma_f32_16x16x32_fp8_fp8 v[32:35], a[84:85], a[12:13], v[32:35]// 000000004674: D3F30020 1C821954
	buffer_load_dwordx4 a[52:55], v233, s[12:15], 0 offen offset:3072// 00000000467C: E05C1C00 808334E9
	v_mfma_f32_16x16x32_fp8_fp8 v[32:35], a[86:87], a[14:15], v[32:35]// 000000004684: D3F30020 1C821D56
	v_mfma_f32_16x16x32_fp8_fp8 v[36:39], a[56:57], a[16:17], 0// 00000000468C: D3F30024 1A022138
	v_mfma_f32_16x16x32_fp8_fp8 v[36:39], a[58:59], a[18:19], v[36:39]// 000000004694: D3F30024 1C92253A
	v_mfma_f32_16x16x32_fp8_fp8 v[36:39], a[60:61], a[20:21], v[36:39]// 00000000469C: D3F30024 1C92293C
	v_mfma_f32_16x16x32_fp8_fp8 v[36:39], a[62:63], a[22:23], v[36:39]// 0000000046A4: D3F30024 1C922D3E
	v_mfma_f32_16x16x32_fp8_fp8 v[40:43], a[64:65], a[16:17], 0// 0000000046AC: D3F30028 1A022140
	v_mfma_f32_16x16x32_fp8_fp8 v[40:43], a[66:67], a[18:19], v[40:43]// 0000000046B4: D3F30028 1CA22542
	v_mfma_f32_16x16x32_fp8_fp8 v[40:43], a[68:69], a[20:21], v[40:43]// 0000000046BC: D3F30028 1CA22944
	v_mfma_f32_16x16x32_fp8_fp8 v[40:43], a[70:71], a[22:23], v[40:43]// 0000000046C4: D3F30028 1CA22D46
	v_mfma_f32_16x16x32_fp8_fp8 v[44:47], a[72:73], a[16:17], 0// 0000000046CC: D3F3002C 1A022148
	v_mfma_f32_16x16x32_fp8_fp8 v[44:47], a[74:75], a[18:19], v[44:47]// 0000000046D4: D3F3002C 1CB2254A
	v_mfma_f32_16x16x32_fp8_fp8 v[44:47], a[76:77], a[20:21], v[44:47]// 0000000046DC: D3F3002C 1CB2294C
	v_mfma_f32_16x16x32_fp8_fp8 v[44:47], a[78:79], a[22:23], v[44:47]// 0000000046E4: D3F3002C 1CB22D4E
	v_mfma_f32_16x16x32_fp8_fp8 v[48:51], a[80:81], a[16:17], 0// 0000000046EC: D3F30030 1A022150
	v_mfma_f32_16x16x32_fp8_fp8 v[48:51], a[82:83], a[18:19], v[48:51]// 0000000046F4: D3F30030 1CC22552
	v_mfma_f32_16x16x32_fp8_fp8 v[48:51], a[84:85], a[20:21], v[48:51]// 0000000046FC: D3F30030 1CC22954
	v_mfma_f32_16x16x32_fp8_fp8 v[48:51], a[86:87], a[22:23], v[48:51]// 000000004704: D3F30030 1CC22D56
	s_waitcnt vmcnt(16)                                        // 00000000470C: BF8C4F70
	v_or_b32_dpp v36, v44, v36 row_shr:8 row_mask:0xf bank_mask:0xf bound_ctrl:1// 000000004710: 284848FA FF09182C
	v_or_b32_dpp v37, v45, v37 row_shr:8 row_mask:0xf bank_mask:0xf bound_ctrl:1// 000000004718: 284A4AFA FF09182D
	v_or_b32_dpp v38, v46, v38 row_shr:8 row_mask:0xf bank_mask:0xf bound_ctrl:1// 000000004720: 284C4CFA FF09182E
	v_or_b32_dpp v39, v47, v39 row_shr:8 row_mask:0xf bank_mask:0xf bound_ctrl:1// 000000004728: 284E4EFA FF09182F
	v_or_b32_dpp v40, v48, v40 row_shr:8 row_mask:0xf bank_mask:0xf bound_ctrl:1// 000000004730: 285050FA FF091830
	v_or_b32_dpp v41, v49, v41 row_shr:8 row_mask:0xf bank_mask:0xf bound_ctrl:1// 000000004738: 285252FA FF091831
	v_or_b32_dpp v42, v50, v42 row_shr:8 row_mask:0xf bank_mask:0xf bound_ctrl:1// 000000004740: 285454FA FF091832
	v_or_b32_dpp v43, v51, v43 row_shr:8 row_mask:0xf bank_mask:0xf bound_ctrl:1// 000000004748: 285656FA FF091833
	v_pk_mul_f32 v[4:5], v[148:149], v[4:5]                    // 000000004750: D3B14004 18020994
	v_pk_mul_f32 v[6:7], v[148:149], v[6:7]                    // 000000004758: D3B14006 18020D94
	v_pk_mul_f32 v[8:9], v[148:149], v[8:9]                    // 000000004760: D3B14008 18021194
	v_pk_mul_f32 v[10:11], v[148:149], v[10:11]                // 000000004768: D3B1400A 18021594
	v_pk_mul_f32 v[12:13], v[148:149], v[12:13]                // 000000004770: D3B1400C 18021994
	v_pk_mul_f32 v[14:15], v[148:149], v[14:15]                // 000000004778: D3B1400E 18021D94
	v_pk_mul_f32 v[16:17], v[148:149], v[16:17]                // 000000004780: D3B14010 18022194
	v_pk_mul_f32 v[18:19], v[148:149], v[18:19]                // 000000004788: D3B14012 18022594
	v_mul_f32_e32 v4, v155, v4                                 // 000000004790: 0A08099B
	v_mul_f32_e32 v5, v155, v5                                 // 000000004794: 0A0A0B9B
	v_mul_f32_e32 v6, v155, v6                                 // 000000004798: 0A0C0D9B
	v_mul_f32_e32 v7, v155, v7                                 // 00000000479C: 0A0E0F9B
	v_mul_f32_e32 v8, v155, v8                                 // 0000000047A0: 0A10119B
	v_mul_f32_e32 v9, v155, v9                                 // 0000000047A4: 0A12139B
	v_mul_f32_e32 v10, v155, v10                               // 0000000047A8: 0A14159B
	v_mul_f32_e32 v11, v155, v11                               // 0000000047AC: 0A16179B
	v_mul_f32_e32 v12, v155, v12                               // 0000000047B0: 0A18199B
	v_mul_f32_e32 v13, v155, v13                               // 0000000047B4: 0A1A1B9B
	v_mul_f32_e32 v14, v155, v14                               // 0000000047B8: 0A1C1D9B
	v_mul_f32_e32 v15, v155, v15                               // 0000000047BC: 0A1E1F9B
	v_mul_f32_e32 v16, v155, v16                               // 0000000047C0: 0A20219B
	v_mul_f32_e32 v17, v155, v17                               // 0000000047C4: 0A22239B
	v_mul_f32_e32 v18, v155, v18                               // 0000000047C8: 0A24259B
	v_mul_f32_e32 v19, v155, v19                               // 0000000047CC: 0A26279B
	v_pk_mul_f32 v[20:21], v[150:151], v[20:21]                // 0000000047D0: D3B14014 18022996
	v_pk_mul_f32 v[22:23], v[150:151], v[22:23]                // 0000000047D8: D3B14016 18022D96
	v_pk_mul_f32 v[24:25], v[150:151], v[24:25]                // 0000000047E0: D3B14018 18023196
	v_pk_mul_f32 v[26:27], v[150:151], v[26:27]                // 0000000047E8: D3B1401A 18023596
	v_pk_mul_f32 v[28:29], v[150:151], v[28:29]                // 0000000047F0: D3B1401C 18023996
	v_pk_mul_f32 v[30:31], v[150:151], v[30:31]                // 0000000047F8: D3B1401E 18023D96
	v_pk_mul_f32 v[32:33], v[150:151], v[32:33]                // 000000004800: D3B14020 18024196
	v_pk_mul_f32 v[34:35], v[150:151], v[34:35]                // 000000004808: D3B14022 18024596
	v_mul_f32_e32 v20, v155, v20                               // 000000004810: 0A28299B
	v_mul_f32_e32 v21, v155, v21                               // 000000004814: 0A2A2B9B
	v_mul_f32_e32 v22, v155, v22                               // 000000004818: 0A2C2D9B
	v_mul_f32_e32 v23, v155, v23                               // 00000000481C: 0A2E2F9B
	v_mul_f32_e32 v24, v155, v24                               // 000000004820: 0A30319B
	v_mul_f32_e32 v25, v155, v25                               // 000000004824: 0A32339B
	v_mul_f32_e32 v26, v155, v26                               // 000000004828: 0A34359B
	v_mul_f32_e32 v27, v155, v27                               // 00000000482C: 0A36379B
	v_mul_f32_e32 v28, v155, v28                               // 000000004830: 0A38399B
	v_mul_f32_e32 v29, v155, v29                               // 000000004834: 0A3A3B9B
	v_mul_f32_e32 v30, v155, v30                               // 000000004838: 0A3C3D9B
	v_mul_f32_e32 v31, v155, v31                               // 00000000483C: 0A3E3F9B
	v_mul_f32_e32 v32, v155, v32                               // 000000004840: 0A40419B
	v_mul_f32_e32 v33, v155, v33                               // 000000004844: 0A42439B
	v_mul_f32_e32 v34, v155, v34                               // 000000004848: 0A44459B
	v_mul_f32_e32 v35, v155, v35                               // 00000000484C: 0A46479B
	v_pk_mul_f32 v[36:37], v[152:153], v[36:37]                // 000000004850: D3B14024 18024998
	v_pk_mul_f32 v[38:39], v[152:153], v[38:39]                // 000000004858: D3B14026 18024D98
	v_pk_mul_f32 v[40:41], v[152:153], v[40:41]                // 000000004860: D3B14028 18025198
	v_pk_mul_f32 v[42:43], v[152:153], v[42:43]                // 000000004868: D3B1402A 18025598
	v_mul_f32_e32 v36, v155, v36                               // 000000004870: 0A48499B
	v_mul_f32_e32 v37, v155, v37                               // 000000004874: 0A4A4B9B
	v_mul_f32_e32 v38, v155, v38                               // 000000004878: 0A4C4D9B
	v_mul_f32_e32 v39, v155, v39                               // 00000000487C: 0A4E4F9B
	v_mul_f32_e32 v40, v155, v40                               // 000000004880: 0A50519B
	v_mul_f32_e32 v41, v155, v41                               // 000000004884: 0A52539B
	v_mul_f32_e32 v42, v155, v42                               // 000000004888: 0A54559B
	v_mul_f32_e32 v43, v155, v43                               // 00000000488C: 0A56579B
	v_mov_b32_e32 v190, v36                                    // 000000004890: 7F7C0324
	v_max3_f32 v190, v36, v37, v190                            // 000000004894: D1D300BE 06FA4B24
	v_max3_f32 v190, v38, v39, v190                            // 00000000489C: D1D300BE 06FA4F26
	v_max3_f32 v190, v40, v41, v190                            // 0000000048A4: D1D300BE 06FA5328
	v_max3_f32 v190, v42, v43, v190                            // 0000000048AC: D1D300BE 06FA572A
	v_mov_b32_e32 v189, v20                                    // 0000000048B4: 7F7A0314
	v_max3_f32 v189, v20, v21, v189                            // 0000000048B8: D1D300BD 06F62B14
	v_max3_f32 v189, v22, v23, v189                            // 0000000048C0: D1D300BD 06F62F16
	v_max3_f32 v189, v24, v25, v189                            // 0000000048C8: D1D300BD 06F63318
	v_max3_f32 v189, v26, v27, v189                            // 0000000048D0: D1D300BD 06F6371A
	v_max3_f32 v189, v28, v29, v189                            // 0000000048D8: D1D300BD 06F63B1C
	v_max3_f32 v189, v30, v31, v189                            // 0000000048E0: D1D300BD 06F63F1E
	v_max3_f32 v189, v32, v33, v189                            // 0000000048E8: D1D300BD 06F64320
	v_max3_f32 v189, v34, v35, v189                            // 0000000048F0: D1D300BD 06F64722
	v_mov_b32_e32 v188, v4                                     // 0000000048F8: 7F780304
	v_max3_f32 v188, v4, v5, v188                              // 0000000048FC: D1D300BC 06F20B04
	v_max3_f32 v188, v6, v7, v188                              // 000000004904: D1D300BC 06F20F06
	v_max3_f32 v188, v8, v9, v188                              // 00000000490C: D1D300BC 06F21308
	v_max3_f32 v188, v10, v11, v188                            // 000000004914: D1D300BC 06F2170A
	v_max3_f32 v188, v12, v13, v188                            // 00000000491C: D1D300BC 06F21B0C
	v_max3_f32 v188, v14, v15, v188                            // 000000004924: D1D300BC 06F21F0E
	v_max3_f32 v188, v16, v17, v188                            // 00000000492C: D1D300BC 06F22310
	v_max3_f32 v188, v18, v19, v188                            // 000000004934: D1D300BC 06F22712
	v_max_f32_dpp v190, v190, v190 row_ror:8 row_mask:0xf bank_mask:0xf// 00000000493C: 177D7CFA FF0128BE
	ds_bpermute_b32 v172, v212, v188                           // 000000004944: D87E0000 AC00BCD4
	ds_bpermute_b32 v173, v213, v188                           // 00000000494C: D87E0000 AD00BCD5
	ds_bpermute_b32 v174, v214, v188                           // 000000004954: D87E0000 AE00BCD6
	ds_bpermute_b32 v175, v212, v189                           // 00000000495C: D87E0000 AF00BDD4
	ds_bpermute_b32 v176, v213, v189                           // 000000004964: D87E0000 B000BDD5
	ds_bpermute_b32 v177, v214, v189                           // 00000000496C: D87E0000 B100BDD6
	ds_bpermute_b32 v178, v212, v190                           // 000000004974: D87E0000 B200BED4
	ds_bpermute_b32 v179, v213, v190                           // 00000000497C: D87E0000 B300BED5
	ds_bpermute_b32 v180, v214, v190                           // 000000004984: D87E0000 B400BED6
	v_pk_mul_f32 v[124:125], v[200:201], v[124:125]            // 00000000498C: D3B1407C 1802F9C8
	v_pk_mul_f32 v[126:127], v[200:201], v[126:127]            // 000000004994: D3B1407E 1802FDC8
	v_pk_mul_f32 v[128:129], v[200:201], v[128:129]            // 00000000499C: D3B14080 180301C8
	v_pk_mul_f32 v[130:131], v[200:201], v[130:131]            // 0000000049A4: D3B14082 180305C8
	v_pk_mul_f32 v[132:133], v[202:203], v[132:133]            // 0000000049AC: D3B14084 180309CA
	v_pk_mul_f32 v[134:135], v[202:203], v[134:135]            // 0000000049B4: D3B14086 18030DCA
	v_pk_mul_f32 v[136:137], v[202:203], v[136:137]            // 0000000049BC: D3B14088 180311CA
	v_pk_mul_f32 v[138:139], v[202:203], v[138:139]            // 0000000049C4: D3B1408A 180315CA
	v_pk_mul_f32 v[140:141], v[204:205], v[140:141]            // 0000000049CC: D3B1408C 180319CC
	v_pk_mul_f32 v[142:143], v[204:205], v[142:143]            // 0000000049D4: D3B1408E 18031DCC
	v_pk_mul_f32 v[144:145], v[204:205], v[144:145]            // 0000000049DC: D3B14090 180321CC
	v_pk_mul_f32 v[146:147], v[204:205], v[146:147]            // 0000000049E4: D3B14092 180325CC
	s_waitcnt lgkmcnt(6)                                       // 0000000049EC: BF8CC67F
	v_max3_f32 v188, v172, v173, v188                          // 0000000049F0: D1D300BC 06F35BAC
	v_max_f32_e32 v188, v174, v188                             // 0000000049F8: 177979AE
	s_waitcnt lgkmcnt(3)                                       // 0000000049FC: BF8CC37F
	v_max3_f32 v189, v175, v176, v189                          // 000000004A00: D1D300BD 06F761AF
	v_max_f32_e32 v189, v177, v189                             // 000000004A08: 177B7BB1
	s_waitcnt lgkmcnt(0)                                       // 000000004A0C: BF8CC07F
	v_max3_f32 v190, v178, v179, v190                          // 000000004A10: D1D300BE 06FB67B2
	v_max_f32_e32 v190, v180, v190                             // 000000004A18: 177D7DB4
	ds_write_b128 v252, v[188:191]                             // 000000004A1C: D9BE0000 0000BCFC
	s_waitcnt lgkmcnt(0)                                       // 000000004A24: BF8CC07F
	s_barrier                                                  // 000000004A28: BF8A0000
	ds_read_b128 v[172:175], v253                              // 000000004A2C: D9FE0000 AC0000FD
	ds_read_b128 v[176:179], v253 offset:256                   // 000000004A34: D9FE0100 B00000FD
	ds_read_b128 v[180:183], v253 offset:512                   // 000000004A3C: D9FE0200 B40000FD
	ds_read_b128 v[184:187], v253 offset:768                   // 000000004A44: D9FE0300 B80000FD
	v_pk_mul_f32 v[100:101], v[158:159], v[100:101]            // 000000004A4C: D3B14064 1802C99E
	v_pk_mul_f32 v[102:103], v[158:159], v[102:103]            // 000000004A54: D3B14066 1802CD9E
	v_pk_mul_f32 v[104:105], v[158:159], v[104:105]            // 000000004A5C: D3B14068 1802D19E
	v_pk_mul_f32 v[106:107], v[158:159], v[106:107]            // 000000004A64: D3B1406A 1802D59E
	v_pk_mul_f32 v[108:109], v[160:161], v[108:109]            // 000000004A6C: D3B1406C 1802D9A0
	v_pk_mul_f32 v[110:111], v[160:161], v[110:111]            // 000000004A74: D3B1406E 1802DDA0
	v_pk_mul_f32 v[112:113], v[160:161], v[112:113]            // 000000004A7C: D3B14070 1802E1A0
	v_pk_mul_f32 v[114:115], v[160:161], v[114:115]            // 000000004A84: D3B14072 1802E5A0
	v_pk_mul_f32 v[116:117], v[162:163], v[116:117]            // 000000004A8C: D3B14074 1802E9A2
	v_pk_mul_f32 v[118:119], v[162:163], v[118:119]            // 000000004A94: D3B14076 1802EDA2
	v_pk_mul_f32 v[120:121], v[162:163], v[120:121]            // 000000004A9C: D3B14078 1802F1A2
	v_pk_mul_f32 v[122:123], v[162:163], v[122:123]            // 000000004AA4: D3B1407A 1802F5A2
	s_waitcnt lgkmcnt(0)                                       // 000000004AAC: BF8CC07F
	v_max3_f32 v188, v172, v176, v188                          // 000000004AB0: D1D300BC 06F361AC
	v_max3_f32 v189, v173, v177, v189                          // 000000004AB8: D1D300BD 06F763AD
	v_max3_f32 v190, v174, v178, v190                          // 000000004AC0: D1D300BE 06FB65AE
	v_max3_f32 v188, v180, v184, v188                          // 000000004AC8: D1D300BC 06F371B4
	v_max3_f32 v189, v181, v185, v189                          // 000000004AD0: D1D300BD 06F773B5
	v_max3_f32 v190, v182, v186, v190                          // 000000004AD8: D1D300BE 06FB75B6
	v_max_f32_e32 v197, v188, v194                             // 000000004AE0: 178B85BC
	v_mul_f32_e64 v168, -s46, v197                             // 000000004AE4: D10500A8 20038A2E
	v_mov_b32_e32 v169, v168                                   // 000000004AEC: 7F5203A8
	v_pk_fma_f32 v[4:5], v[4:5], s[46:47], v[168:169]          // 000000004AF0: D3B04004 1EA05D04
	v_pk_fma_f32 v[6:7], v[6:7], s[46:47], v[168:169]          // 000000004AF8: D3B04006 1EA05D06
	v_exp_f32_e32 v4, v4                                       // 000000004B00: 7E084104
	v_exp_f32_e32 v5, v5                                       // 000000004B04: 7E0A4105
	v_exp_f32_e32 v6, v6                                       // 000000004B08: 7E0C4106
	v_exp_f32_e32 v7, v7                                       // 000000004B0C: 7E0E4107
	v_pk_fma_f32 v[8:9], v[8:9], s[46:47], v[168:169]          // 000000004B10: D3B04008 1EA05D08
	v_pk_fma_f32 v[10:11], v[10:11], s[46:47], v[168:169]      // 000000004B18: D3B0400A 1EA05D0A
	v_exp_f32_e32 v8, v8                                       // 000000004B20: 7E104108
	v_exp_f32_e32 v9, v9                                       // 000000004B24: 7E124109
	v_exp_f32_e32 v10, v10                                     // 000000004B28: 7E14410A
	v_exp_f32_e32 v11, v11                                     // 000000004B2C: 7E16410B
	v_pk_fma_f32 v[12:13], v[12:13], s[46:47], v[168:169]      // 000000004B30: D3B0400C 1EA05D0C
	v_pk_fma_f32 v[14:15], v[14:15], s[46:47], v[168:169]      // 000000004B38: D3B0400E 1EA05D0E
	v_exp_f32_e32 v12, v12                                     // 000000004B40: 7E18410C
	v_exp_f32_e32 v13, v13                                     // 000000004B44: 7E1A410D
	v_exp_f32_e32 v14, v14                                     // 000000004B48: 7E1C410E
	v_exp_f32_e32 v15, v15                                     // 000000004B4C: 7E1E410F
	v_pk_fma_f32 v[16:17], v[16:17], s[46:47], v[168:169]      // 000000004B50: D3B04010 1EA05D10
	v_pk_fma_f32 v[18:19], v[18:19], s[46:47], v[168:169]      // 000000004B58: D3B04012 1EA05D12
	v_exp_f32_e32 v16, v16                                     // 000000004B60: 7E204110
	v_exp_f32_e32 v17, v17                                     // 000000004B64: 7E224111
	v_exp_f32_e32 v18, v18                                     // 000000004B68: 7E244112
	v_exp_f32_e32 v19, v19                                     // 000000004B6C: 7E264113
	v_max_f32_e32 v198, v189, v195                             // 000000004B70: 178D87BD
	v_mul_f32_e64 v168, -s46, v198                             // 000000004B74: D10500A8 20038C2E
	v_mov_b32_e32 v169, v168                                   // 000000004B7C: 7F5203A8
	v_pk_fma_f32 v[20:21], v[20:21], s[46:47], v[168:169]      // 000000004B80: D3B04014 1EA05D14
	v_pk_fma_f32 v[22:23], v[22:23], s[46:47], v[168:169]      // 000000004B88: D3B04016 1EA05D16
	v_exp_f32_e32 v20, v20                                     // 000000004B90: 7E284114
	v_exp_f32_e32 v21, v21                                     // 000000004B94: 7E2A4115
	v_exp_f32_e32 v22, v22                                     // 000000004B98: 7E2C4116
	v_exp_f32_e32 v23, v23                                     // 000000004B9C: 7E2E4117
	v_pk_fma_f32 v[24:25], v[24:25], s[46:47], v[168:169]      // 000000004BA0: D3B04018 1EA05D18
	v_pk_fma_f32 v[26:27], v[26:27], s[46:47], v[168:169]      // 000000004BA8: D3B0401A 1EA05D1A
	v_exp_f32_e32 v24, v24                                     // 000000004BB0: 7E304118
	v_exp_f32_e32 v25, v25                                     // 000000004BB4: 7E324119
	v_exp_f32_e32 v26, v26                                     // 000000004BB8: 7E34411A
	v_exp_f32_e32 v27, v27                                     // 000000004BBC: 7E36411B
	v_pk_fma_f32 v[28:29], v[28:29], s[46:47], v[168:169]      // 000000004BC0: D3B0401C 1EA05D1C
	v_pk_fma_f32 v[30:31], v[30:31], s[46:47], v[168:169]      // 000000004BC8: D3B0401E 1EA05D1E
	v_exp_f32_e32 v28, v28                                     // 000000004BD0: 7E38411C
	v_exp_f32_e32 v29, v29                                     // 000000004BD4: 7E3A411D
	v_exp_f32_e32 v30, v30                                     // 000000004BD8: 7E3C411E
	v_exp_f32_e32 v31, v31                                     // 000000004BDC: 7E3E411F
	v_pk_fma_f32 v[32:33], v[32:33], s[46:47], v[168:169]      // 000000004BE0: D3B04020 1EA05D20
	v_pk_fma_f32 v[34:35], v[34:35], s[46:47], v[168:169]      // 000000004BE8: D3B04022 1EA05D22
	v_exp_f32_e32 v32, v32                                     // 000000004BF0: 7E404120
	v_exp_f32_e32 v33, v33                                     // 000000004BF4: 7E424121
	v_exp_f32_e32 v34, v34                                     // 000000004BF8: 7E444122
	v_exp_f32_e32 v35, v35                                     // 000000004BFC: 7E464123
	v_max_f32_e32 v199, v190, v196                             // 000000004C00: 178F89BE
	v_mul_f32_e64 v168, -s46, v199                             // 000000004C04: D10500A8 20038E2E
	v_mov_b32_e32 v169, v168                                   // 000000004C0C: 7F5203A8
	v_pk_fma_f32 v[36:37], v[36:37], s[46:47], v[168:169]      // 000000004C10: D3B04024 1EA05D24
	v_pk_fma_f32 v[38:39], v[38:39], s[46:47], v[168:169]      // 000000004C18: D3B04026 1EA05D26
	v_exp_f32_e32 v36, v36                                     // 000000004C20: 7E484124
	v_exp_f32_e32 v37, v37                                     // 000000004C24: 7E4A4125
	v_exp_f32_e32 v38, v38                                     // 000000004C28: 7E4C4126
	v_exp_f32_e32 v39, v39                                     // 000000004C2C: 7E4E4127
	v_pk_fma_f32 v[40:41], v[40:41], s[46:47], v[168:169]      // 000000004C30: D3B04028 1EA05D28
	v_pk_fma_f32 v[42:43], v[42:43], s[46:47], v[168:169]      // 000000004C38: D3B0402A 1EA05D2A
	v_exp_f32_e32 v40, v40                                     // 000000004C40: 7E504128
	v_exp_f32_e32 v41, v41                                     // 000000004C44: 7E524129
	v_exp_f32_e32 v42, v42                                     // 000000004C48: 7E54412A
	v_exp_f32_e32 v43, v43                                     // 000000004C4C: 7E56412B
	v_mul_f32_e32 v52, v157, v4                                // 000000004C50: 0A68099D
	v_mul_f32_e32 v53, v157, v5                                // 000000004C54: 0A6A0B9D
	v_mul_f32_e32 v54, v157, v6                                // 000000004C58: 0A6C0D9D
	v_mul_f32_e32 v55, v157, v7                                // 000000004C5C: 0A6E0F9D
	v_mul_f32_e32 v56, v157, v8                                // 000000004C60: 0A70119D
	v_mul_f32_e32 v57, v157, v9                                // 000000004C64: 0A72139D
	v_mul_f32_e32 v58, v157, v10                               // 000000004C68: 0A74159D
	v_mul_f32_e32 v59, v157, v11                               // 000000004C6C: 0A76179D
	v_mul_f32_e32 v60, v157, v12                               // 000000004C70: 0A78199D
	v_mul_f32_e32 v61, v157, v13                               // 000000004C74: 0A7A1B9D
	v_mul_f32_e32 v62, v157, v14                               // 000000004C78: 0A7C1D9D
	v_mul_f32_e32 v63, v157, v15                               // 000000004C7C: 0A7E1F9D
	v_mul_f32_e32 v64, v157, v16                               // 000000004C80: 0A80219D
	v_mul_f32_e32 v65, v157, v17                               // 000000004C84: 0A82239D
	v_mul_f32_e32 v66, v157, v18                               // 000000004C88: 0A84259D
	v_mul_f32_e32 v67, v157, v19                               // 000000004C8C: 0A86279D
	v_mul_f32_e32 v68, v157, v20                               // 000000004C90: 0A88299D
	v_mul_f32_e32 v69, v157, v21                               // 000000004C94: 0A8A2B9D
	v_mul_f32_e32 v70, v157, v22                               // 000000004C98: 0A8C2D9D
	v_mul_f32_e32 v71, v157, v23                               // 000000004C9C: 0A8E2F9D
	v_mul_f32_e32 v72, v157, v24                               // 000000004CA0: 0A90319D
	v_mul_f32_e32 v73, v157, v25                               // 000000004CA4: 0A92339D
	v_mul_f32_e32 v74, v157, v26                               // 000000004CA8: 0A94359D
	v_mul_f32_e32 v75, v157, v27                               // 000000004CAC: 0A96379D
	v_mul_f32_e32 v76, v157, v28                               // 000000004CB0: 0A98399D
	v_mul_f32_e32 v77, v157, v29                               // 000000004CB4: 0A9A3B9D
	v_mul_f32_e32 v78, v157, v30                               // 000000004CB8: 0A9C3D9D
	v_mul_f32_e32 v79, v157, v31                               // 000000004CBC: 0A9E3F9D
	v_mul_f32_e32 v80, v157, v32                               // 000000004CC0: 0AA0419D
	v_mul_f32_e32 v81, v157, v33                               // 000000004CC4: 0AA2439D
	v_mul_f32_e32 v82, v157, v34                               // 000000004CC8: 0AA4459D
	v_mul_f32_e32 v83, v157, v35                               // 000000004CCC: 0AA6479D
	v_mul_f32_e32 v84, v157, v36                               // 000000004CD0: 0AA8499D
	v_mul_f32_e32 v85, v157, v37                               // 000000004CD4: 0AAA4B9D
	v_mul_f32_e32 v86, v157, v38                               // 000000004CD8: 0AAC4D9D
	v_mul_f32_e32 v87, v157, v39                               // 000000004CDC: 0AAE4F9D
	v_mul_f32_e32 v88, v157, v40                               // 000000004CE0: 0AB0519D
	v_mul_f32_e32 v89, v157, v41                               // 000000004CE4: 0AB2539D
	v_mul_f32_e32 v90, v157, v42                               // 000000004CE8: 0AB4559D
	v_mul_f32_e32 v91, v157, v43                               // 000000004CEC: 0AB6579D
	buffer_load_dword v154, v238, s[20:23], 0 offen            // 000000004CF0: E0501000 80059AEE
	v_sub_f32_e32 v200, v194, v197                             // 000000004CF8: 05918BC2
	v_cmp_eq_u32_e64 s[98:99], v225, v194                      // 000000004CFC: D0CA0062 000385E1
	v_cndmask_b32_e64 v200, v200, 0, s[98:99]                  // 000000004D04: D10000C8 018901C8
	v_mov_b32_e32 v194, v197                                   // 000000004D0C: 7F8403C5
	v_mul_f32_e32 v200, s46, v200                              // 000000004D10: 0B91902E
	v_exp_f32_e32 v200, v200                                   // 000000004D14: 7F9041C8
	v_sub_f32_e32 v202, v195, v198                             // 000000004D18: 05958DC3
	v_cmp_eq_u32_e64 s[98:99], v225, v195                      // 000000004D1C: D0CA0062 000387E1
	v_cndmask_b32_e64 v202, v202, 0, s[98:99]                  // 000000004D24: D10000CA 018901CA
	v_mov_b32_e32 v195, v198                                   // 000000004D2C: 7F8603C6
	v_mul_f32_e32 v202, s46, v202                              // 000000004D30: 0B95942E
	v_exp_f32_e32 v202, v202                                   // 000000004D34: 7F9441CA
	v_sub_f32_e32 v204, v196, v199                             // 000000004D38: 05998FC4
	v_cmp_eq_u32_e64 s[98:99], v225, v196                      // 000000004D3C: D0CA0062 000389E1
	v_cndmask_b32_e64 v204, v204, 0, s[98:99]                  // 000000004D44: D10000CC 018901CC
	v_mov_b32_e32 v196, v199                                   // 000000004D4C: 7F8803C7
	v_mul_f32_e32 v204, s46, v204                              // 000000004D50: 0B99982E
	v_exp_f32_e32 v204, v204                                   // 000000004D54: 7F9841CC
	v_mov_b32_e32 v201, v200                                   // 000000004D58: 7F9203C8
	v_mov_b32_e32 v203, v202                                   // 000000004D5C: 7F9603CA
	v_mov_b32_e32 v205, v204                                   // 000000004D60: 7F9A03CC
	s_waitcnt lgkmcnt(0)                                       // 000000004D64: BF8CC07F
	s_barrier                                                  // 000000004D68: BF8A0000
	buffer_load_dword v156, v239, s[24:27], 0 offen            // 000000004D6C: E0501000 80069CEF
	v_mul_f32_e32 v206, v200, v206                             // 000000004D74: 0B9D9DC8
	v_mov_b32_e32 v207, 0                                      // 000000004D78: 7F9E0280
	v_pk_add_f32 v[206:207], v[4:5], v[206:207]                // 000000004D7C: D3B240CE 18039D04
	v_pk_add_f32 v[206:207], v[6:7], v[206:207]                // 000000004D84: D3B240CE 18039D06
	v_pk_add_f32 v[206:207], v[8:9], v[206:207]                // 000000004D8C: D3B240CE 18039D08
	v_pk_add_f32 v[206:207], v[10:11], v[206:207]              // 000000004D94: D3B240CE 18039D0A
	v_pk_add_f32 v[206:207], v[12:13], v[206:207]              // 000000004D9C: D3B240CE 18039D0C
	v_pk_add_f32 v[206:207], v[14:15], v[206:207]              // 000000004DA4: D3B240CE 18039D0E
	v_pk_add_f32 v[206:207], v[16:17], v[206:207]              // 000000004DAC: D3B240CE 18039D10
	v_pk_add_f32 v[206:207], v[18:19], v[206:207]              // 000000004DB4: D3B240CE 18039D12
	v_add_f32_e32 v206, v207, v206                             // 000000004DBC: 039D9DCF
	v_mul_f32_e32 v208, v202, v208                             // 000000004DC0: 0BA1A1CA
	v_mov_b32_e32 v209, 0                                      // 000000004DC4: 7FA20280
	v_pk_add_f32 v[208:209], v[20:21], v[208:209]              // 000000004DC8: D3B240D0 1803A114
	v_pk_add_f32 v[208:209], v[22:23], v[208:209]              // 000000004DD0: D3B240D0 1803A116
	v_pk_add_f32 v[208:209], v[24:25], v[208:209]              // 000000004DD8: D3B240D0 1803A118
	v_pk_add_f32 v[208:209], v[26:27], v[208:209]              // 000000004DE0: D3B240D0 1803A11A
	v_pk_add_f32 v[208:209], v[28:29], v[208:209]              // 000000004DE8: D3B240D0 1803A11C
	v_pk_add_f32 v[208:209], v[30:31], v[208:209]              // 000000004DF0: D3B240D0 1803A11E
	v_pk_add_f32 v[208:209], v[32:33], v[208:209]              // 000000004DF8: D3B240D0 1803A120
	v_pk_add_f32 v[208:209], v[34:35], v[208:209]              // 000000004E00: D3B240D0 1803A122
	v_add_f32_e32 v208, v209, v208                             // 000000004E08: 03A1A1D1
	v_mul_f32_e32 v210, v204, v210                             // 000000004E0C: 0BA5A5CC
	v_mov_b32_e32 v211, 0                                      // 000000004E10: 7FA60280
	v_pk_add_f32 v[210:211], v[36:37], v[210:211]              // 000000004E14: D3B240D2 1803A524
	v_pk_add_f32 v[210:211], v[38:39], v[210:211]              // 000000004E1C: D3B240D2 1803A526
	v_pk_add_f32 v[210:211], v[40:41], v[210:211]              // 000000004E24: D3B240D2 1803A528
	v_pk_add_f32 v[210:211], v[42:43], v[210:211]              // 000000004E2C: D3B240D2 1803A52A
	v_add_f32_e32 v210, v211, v210                             // 000000004E34: 03A5A5D3
	s_waitcnt lgkmcnt(0)                                       // 000000004E38: BF8CC07F
	v_sub_f32_e32 v188, v188, v194                             // 000000004E3C: 057985BC
	v_sub_f32_e32 v189, v189, v195                             // 000000004E40: 057B87BD
	v_sub_f32_e32 v190, v190, v196                             // 000000004E44: 057D89BE
	v_mul_f32_e32 v188, s46, v188                              // 000000004E48: 0B79782E
	v_mul_f32_e32 v189, s46, v189                              // 000000004E4C: 0B7B7A2E
	v_mul_f32_e32 v190, s46, v190                              // 000000004E50: 0B7D7C2E
	v_exp_f32_e32 v188, v188                                   // 000000004E54: 7F7841BC
	v_exp_f32_e32 v189, v189                                   // 000000004E58: 7F7A41BD
	v_exp_f32_e32 v190, v190                                   // 000000004E5C: 7F7C41BE
	v_mul_f32_e32 v188, v157, v188                             // 000000004E60: 0B79799D
	v_mul_f32_e32 v189, v157, v189                             // 000000004E64: 0B7B7B9D
	v_mul_f32_e32 v190, v157, v190                             // 000000004E68: 0B7D7D9D
	v_add_f32_e32 v188, 0x3089705f, v188                       // 000000004E6C: 037978FF 3089705F
	v_add_f32_e32 v189, 0x3089705f, v189                       // 000000004E74: 037B7AFF 3089705F
	v_add_f32_e32 v190, 0x3089705f, v190                       // 000000004E7C: 037D7CFF 3089705F
	v_rcp_f32_e32 v188, v188                                   // 000000004E84: 7F7845BC
	v_rcp_f32_e32 v189, v189                                   // 000000004E88: 7F7A45BD
	v_rcp_f32_e32 v190, v190                                   // 000000004E8C: 7F7C45BE
	v_mul_f32_e32 v188, 0x43700000, v188                       // 000000004E90: 0B7978FF 43700000
	v_mul_f32_e32 v189, 0x43700000, v189                       // 000000004E98: 0B7B7AFF 43700000
	v_mul_f32_e32 v190, 0x43700000, v190                       // 000000004EA0: 0B7D7CFF 43700000
	v_mov_b32_e32 v192, v190                                   // 000000004EA8: 7F8003BE
	v_mov_b32_e32 v193, v190                                   // 000000004EAC: 7F8203BE
	v_mov_b32_e32 v190, v189                                   // 000000004EB0: 7F7C03BD
	v_mov_b32_e32 v191, v189                                   // 000000004EB4: 7F7E03BD
	v_mov_b32_e32 v189, v188                                   // 000000004EB8: 7F7A03BC
	v_pk_mul_f32 v[4:5], v[188:189], v[52:53]                  // 000000004EBC: D3B14004 180269BC
	v_pk_mul_f32 v[6:7], v[188:189], v[54:55]                  // 000000004EC4: D3B14006 18026DBC
	v_pk_mul_f32 v[8:9], v[188:189], v[56:57]                  // 000000004ECC: D3B14008 180271BC
	v_pk_mul_f32 v[10:11], v[188:189], v[58:59]                // 000000004ED4: D3B1400A 180275BC
	v_pk_mul_f32 v[12:13], v[188:189], v[60:61]                // 000000004EDC: D3B1400C 180279BC
	v_pk_mul_f32 v[14:15], v[188:189], v[62:63]                // 000000004EE4: D3B1400E 18027DBC
	v_pk_mul_f32 v[16:17], v[188:189], v[64:65]                // 000000004EEC: D3B14010 180281BC
	v_pk_mul_f32 v[18:19], v[188:189], v[66:67]                // 000000004EF4: D3B14012 180285BC
	v_pk_mul_f32 v[20:21], v[190:191], v[68:69]                // 000000004EFC: D3B14014 180289BE
	v_pk_mul_f32 v[22:23], v[190:191], v[70:71]                // 000000004F04: D3B14016 18028DBE
	v_pk_mul_f32 v[24:25], v[190:191], v[72:73]                // 000000004F0C: D3B14018 180291BE
	v_pk_mul_f32 v[26:27], v[190:191], v[74:75]                // 000000004F14: D3B1401A 180295BE
	v_pk_mul_f32 v[28:29], v[190:191], v[76:77]                // 000000004F1C: D3B1401C 180299BE
	v_pk_mul_f32 v[30:31], v[190:191], v[78:79]                // 000000004F24: D3B1401E 18029DBE
	v_pk_mul_f32 v[32:33], v[190:191], v[80:81]                // 000000004F2C: D3B14020 1802A1BE
	v_pk_mul_f32 v[34:35], v[190:191], v[82:83]                // 000000004F34: D3B14022 1802A5BE
	v_pk_mul_f32 v[36:37], v[192:193], v[84:85]                // 000000004F3C: D3B14024 1802A9C0
	v_pk_mul_f32 v[38:39], v[192:193], v[86:87]                // 000000004F44: D3B14026 1802ADC0
	v_pk_mul_f32 v[40:41], v[192:193], v[88:89]                // 000000004F4C: D3B14028 1802B1C0
	v_pk_mul_f32 v[42:43], v[192:193], v[90:91]                // 000000004F54: D3B1402A 1802B5C0
	v_cvt_pk_fp8_f32 v4, v4, v5                                // 000000004F5C: D2A20004 00020B04
	v_cvt_pk_fp8_f32 v4, v6, v7 op_sel:[0,0,1]                 // 000000004F64: D2A24004 00020F06
	v_cvt_pk_fp8_f32 v5, v8, v9                                // 000000004F6C: D2A20005 00021308
	v_cvt_pk_fp8_f32 v5, v10, v11 op_sel:[0,0,1]               // 000000004F74: D2A24005 0002170A
	v_cvt_pk_fp8_f32 v6, v12, v13                              // 000000004F7C: D2A20006 00021B0C
	v_cvt_pk_fp8_f32 v6, v14, v15 op_sel:[0,0,1]               // 000000004F84: D2A24006 00021F0E
	v_cvt_pk_fp8_f32 v7, v16, v17                              // 000000004F8C: D2A20007 00022310
	v_cvt_pk_fp8_f32 v7, v18, v19 op_sel:[0,0,1]               // 000000004F94: D2A24007 00022712
	v_cvt_pk_fp8_f32 v8, v20, v21                              // 000000004F9C: D2A20008 00022B14
	v_cvt_pk_fp8_f32 v8, v22, v23 op_sel:[0,0,1]               // 000000004FA4: D2A24008 00022F16
	v_cvt_pk_fp8_f32 v9, v24, v25                              // 000000004FAC: D2A20009 00023318
	v_cvt_pk_fp8_f32 v9, v26, v27 op_sel:[0,0,1]               // 000000004FB4: D2A24009 0002371A
	v_cvt_pk_fp8_f32 v10, v28, v29                             // 000000004FBC: D2A2000A 00023B1C
	v_cvt_pk_fp8_f32 v10, v30, v31 op_sel:[0,0,1]              // 000000004FC4: D2A2400A 00023F1E
	v_cvt_pk_fp8_f32 v11, v32, v33                             // 000000004FCC: D2A2000B 00024320
	v_cvt_pk_fp8_f32 v11, v34, v35 op_sel:[0,0,1]              // 000000004FD4: D2A2400B 00024722
	v_cvt_pk_fp8_f32 v12, v36, v37                             // 000000004FDC: D2A2000C 00024B24
	v_cvt_pk_fp8_f32 v12, v38, v39 op_sel:[0,0,1]              // 000000004FE4: D2A2400C 00024F26
	v_cvt_pk_fp8_f32 v13, v40, v41                             // 000000004FEC: D2A2000D 00025328
	v_cvt_pk_fp8_f32 v13, v42, v43 op_sel:[0,0,1]              // 000000004FF4: D2A2400D 0002572A
	v_mov_b32_dpp v14, v12 row_shl:8 row_mask:0xf bank_mask:0xf bound_ctrl:1// 000000004FFC: 7E1C02FA FF09080C
	v_and_b32_e32 v12, v12, v224                               // 000000005004: 2619C10C
	v_mov_b32_dpp v15, v13 row_shl:8 row_mask:0xf bank_mask:0xf bound_ctrl:1// 000000005008: 7E1E02FA FF09080D
	v_and_b32_e32 v13, v13, v224                               // 000000005010: 261BC10D
	ds_write_b32 v254, v4 offset:8192                          // 000000005014: D81A2000 000004FE
	ds_write_b32 v254, v5 offset:9216                          // 00000000501C: D81A2400 000005FE
	ds_write_b32 v254, v6 offset:10240                         // 000000005024: D81A2800 000006FE
	ds_write_b32 v254, v7 offset:11264                         // 00000000502C: D81A2C00 000007FE
	ds_write_b32 v254, v8 offset:12288                         // 000000005034: D81A3000 000008FE
	ds_write_b32 v254, v9 offset:13312                         // 00000000503C: D81A3400 000009FE
	ds_write_b32 v254, v10 offset:14336                        // 000000005044: D81A3800 00000AFE
	ds_write_b32 v254, v11 offset:15360                        // 00000000504C: D81A3C00 00000BFE
	ds_write_b32 v254, v12 offset:16384                        // 000000005054: D81A4000 00000CFE
	ds_write_b32 v254, v13 offset:17408                        // 00000000505C: D81A4400 00000DFE
	ds_write_b32 v254, v14 offset:18432                        // 000000005064: D81A4800 00000EFE
	ds_write_b32 v254, v15 offset:19456                        // 00000000506C: D81A4C00 00000FFE
	v_rcp_f32_e32 v158, v188                                   // 000000005074: 7F3C45BC
	v_rcp_f32_e32 v160, v190                                   // 000000005078: 7F4045BE
	v_rcp_f32_e32 v162, v192                                   // 00000000507C: 7F4445C0
	v_mov_b32_e32 v159, v158                                   // 000000005080: 7F3E039E
	v_mov_b32_e32 v161, v160                                   // 000000005084: 7F4203A0
	v_mov_b32_e32 v163, v162                                   // 000000005088: 7F4603A2
	v_pk_add_f32 v[124:125], v[124:125], v[100:101]            // 00000000508C: D3B2407C 1802C97C
	v_pk_add_f32 v[126:127], v[126:127], v[102:103]            // 000000005094: D3B2407E 1802CD7E
	v_pk_add_f32 v[128:129], v[128:129], v[104:105]            // 00000000509C: D3B24080 1802D180
	v_pk_add_f32 v[130:131], v[130:131], v[106:107]            // 0000000050A4: D3B24082 1802D582
	v_pk_add_f32 v[132:133], v[132:133], v[108:109]            // 0000000050AC: D3B24084 1802D984
	v_pk_add_f32 v[134:135], v[134:135], v[110:111]            // 0000000050B4: D3B24086 1802DD86
	v_pk_add_f32 v[136:137], v[136:137], v[112:113]            // 0000000050BC: D3B24088 1802E188
	v_pk_add_f32 v[138:139], v[138:139], v[114:115]            // 0000000050C4: D3B2408A 1802E58A
	v_pk_add_f32 v[140:141], v[140:141], v[116:117]            // 0000000050CC: D3B2408C 1802E98C
	v_pk_add_f32 v[142:143], v[142:143], v[118:119]            // 0000000050D4: D3B2408E 1802ED8E
	v_pk_add_f32 v[144:145], v[144:145], v[120:121]            // 0000000050DC: D3B24090 1802F190
	v_pk_add_f32 v[146:147], v[146:147], v[122:123]            // 0000000050E4: D3B24092 1802F592
	s_waitcnt lgkmcnt(0)                                       // 0000000050EC: BF8CC07F
	s_barrier                                                  // 0000000050F0: BF8A0000
	ds_read_b128 v[4:7], v255 offset:8192                      // 0000000050F4: D9FE2000 040000FF
	ds_read_b128 v[8:11], v255 offset:9216                     // 0000000050FC: D9FE2400 080000FF
	ds_read_b128 v[12:15], v255 offset:10240                   // 000000005104: D9FE2800 0C0000FF
	ds_read_b128 v[16:19], v255 offset:11264                   // 00000000510C: D9FE2C00 100000FF
	ds_read_b128 v[20:23], v255 offset:12288                   // 000000005114: D9FE3000 140000FF
	ds_read_b128 v[24:27], v255 offset:13312                   // 00000000511C: D9FE3400 180000FF
	ds_read_b128 v[28:31], v255 offset:14336                   // 000000005124: D9FE3800 1C0000FF
	ds_read_b128 v[32:35], v255 offset:15360                   // 00000000512C: D9FE3C00 200000FF
	ds_read_b128 v[36:39], v255 offset:16384                   // 000000005134: D9FE4000 240000FF
	ds_read_b128 v[40:43], v255 offset:17408                   // 00000000513C: D9FE4400 280000FF
	ds_read_b128 v[44:47], v255 offset:18432                   // 000000005144: D9FE4800 2C0000FF
	ds_read_b128 v[48:51], v255 offset:19456                   // 00000000514C: D9FE4C00 300000FF
	s_waitcnt vmcnt(10)                                        // 000000005154: BF8C0F7A
	s_waitcnt lgkmcnt(11)                                      // 000000005158: BF8CCB7F
	v_mfma_f32_16x16x32_fp8_fp8 v[100:103], a[120:121], v[4:5], 0// 00000000515C: D3F30064 0A020978
	v_mfma_f32_16x16x32_fp8_fp8 v[104:107], a[136:137], v[4:5], 0// 000000005164: D3F30068 0A020988
	v_mfma_f32_16x16x32_fp8_fp8 v[100:103], a[122:123], v[6:7], v[100:103]// 00000000516C: D3F30064 0D920D7A
	buffer_load_dwordx4 a[88:91], v234, s[16:19], 0 offen      // 000000005174: E05C1000 808458EA
	v_mfma_f32_16x16x32_fp8_fp8 v[104:107], a[138:139], v[6:7], v[104:107]// 00000000517C: D3F30068 0DA20D8A
	s_waitcnt lgkmcnt(10)                                      // 000000005184: BF8CCA7F
	v_mfma_f32_16x16x32_fp8_fp8 v[100:103], a[124:125], v[8:9], v[100:103]// 000000005188: D3F30064 0D92117C
	v_mfma_f32_16x16x32_fp8_fp8 v[104:107], a[140:141], v[8:9], v[104:107]// 000000005190: D3F30068 0DA2118C
	v_mfma_f32_16x16x32_fp8_fp8 v[100:103], a[126:127], v[10:11], v[100:103]// 000000005198: D3F30064 0D92157E
	buffer_load_dwordx4 a[92:95], v235, s[16:19], 0 offen      // 0000000051A0: E05C1000 80845CEB
	v_mfma_f32_16x16x32_fp8_fp8 v[104:107], a[142:143], v[10:11], v[104:107]// 0000000051A8: D3F30068 0DA2158E
	s_waitcnt lgkmcnt(9)                                       // 0000000051B0: BF8CC97F
	v_mfma_f32_16x16x32_fp8_fp8 v[100:103], a[128:129], v[12:13], v[100:103]// 0000000051B4: D3F30064 0D921980
	v_mfma_f32_16x16x32_fp8_fp8 v[104:107], a[144:145], v[12:13], v[104:107]// 0000000051BC: D3F30068 0DA21990
	v_mfma_f32_16x16x32_fp8_fp8 v[100:103], a[130:131], v[14:15], v[100:103]// 0000000051C4: D3F30064 0D921D82
	buffer_load_dwordx4 a[96:99], v236, s[16:19], 0 offen      // 0000000051CC: E05C1000 808460EC
	v_mfma_f32_16x16x32_fp8_fp8 v[104:107], a[146:147], v[14:15], v[104:107]// 0000000051D4: D3F30068 0DA21D92
	s_waitcnt lgkmcnt(8)                                       // 0000000051DC: BF8CC87F
	v_mfma_f32_16x16x32_fp8_fp8 v[100:103], a[132:133], v[16:17], v[100:103]// 0000000051E0: D3F30064 0D922184
	v_mfma_f32_16x16x32_fp8_fp8 v[104:107], a[148:149], v[16:17], v[104:107]// 0000000051E8: D3F30068 0DA22194
	v_mfma_f32_16x16x32_fp8_fp8 v[100:103], a[134:135], v[18:19], v[100:103]// 0000000051F0: D3F30064 0D922586
	buffer_load_dwordx4 a[100:103], v237, s[16:19], 0 offen    // 0000000051F8: E05C1000 808464ED
	v_mfma_f32_16x16x32_fp8_fp8 v[104:107], a[150:151], v[18:19], v[104:107]// 000000005200: D3F30068 0DA22596
	s_waitcnt lgkmcnt(7)                                       // 000000005208: BF8CC77F
	v_mfma_f32_16x16x32_fp8_fp8 v[108:111], a[120:121], v[20:21], 0// 00000000520C: D3F3006C 0A022978
	v_mfma_f32_16x16x32_fp8_fp8 v[112:115], a[136:137], v[20:21], 0// 000000005214: D3F30070 0A022988
	v_mfma_f32_16x16x32_fp8_fp8 v[108:111], a[122:123], v[22:23], v[108:111]// 00000000521C: D3F3006C 0DB22D7A
	buffer_load_dwordx4 a[104:107], v234, s[16:19], 0 offen offset:1024// 000000005224: E05C1400 808468EA
	v_mfma_f32_16x16x32_fp8_fp8 v[112:115], a[138:139], v[22:23], v[112:115]// 00000000522C: D3F30070 0DC22D8A
	s_waitcnt lgkmcnt(6)                                       // 000000005234: BF8CC67F
	v_mfma_f32_16x16x32_fp8_fp8 v[108:111], a[124:125], v[24:25], v[108:111]// 000000005238: D3F3006C 0DB2317C
	v_mfma_f32_16x16x32_fp8_fp8 v[112:115], a[140:141], v[24:25], v[112:115]// 000000005240: D3F30070 0DC2318C
	v_mfma_f32_16x16x32_fp8_fp8 v[108:111], a[126:127], v[26:27], v[108:111]// 000000005248: D3F3006C 0DB2357E
	buffer_load_dwordx4 a[108:111], v235, s[16:19], 0 offen offset:1024// 000000005250: E05C1400 80846CEB
	v_mfma_f32_16x16x32_fp8_fp8 v[112:115], a[142:143], v[26:27], v[112:115]// 000000005258: D3F30070 0DC2358E
	s_waitcnt lgkmcnt(5)                                       // 000000005260: BF8CC57F
	v_mfma_f32_16x16x32_fp8_fp8 v[108:111], a[128:129], v[28:29], v[108:111]// 000000005264: D3F3006C 0DB23980
	v_mfma_f32_16x16x32_fp8_fp8 v[112:115], a[144:145], v[28:29], v[112:115]// 00000000526C: D3F30070 0DC23990
	v_mfma_f32_16x16x32_fp8_fp8 v[108:111], a[130:131], v[30:31], v[108:111]// 000000005274: D3F3006C 0DB23D82
	buffer_load_dwordx4 a[112:115], v236, s[16:19], 0 offen offset:1024// 00000000527C: E05C1400 808470EC
	v_mfma_f32_16x16x32_fp8_fp8 v[112:115], a[146:147], v[30:31], v[112:115]// 000000005284: D3F30070 0DC23D92
	s_waitcnt lgkmcnt(4)                                       // 00000000528C: BF8CC47F
	v_mfma_f32_16x16x32_fp8_fp8 v[108:111], a[132:133], v[32:33], v[108:111]// 000000005290: D3F3006C 0DB24184
	v_mfma_f32_16x16x32_fp8_fp8 v[112:115], a[148:149], v[32:33], v[112:115]// 000000005298: D3F30070 0DC24194
	v_mfma_f32_16x16x32_fp8_fp8 v[108:111], a[134:135], v[34:35], v[108:111]// 0000000052A0: D3F3006C 0DB24586
	buffer_load_dwordx4 a[116:119], v237, s[16:19], 0 offen offset:1024// 0000000052A8: E05C1400 808474ED
	v_mfma_f32_16x16x32_fp8_fp8 v[112:115], a[150:151], v[34:35], v[112:115]// 0000000052B0: D3F30070 0DC24596
	s_waitcnt lgkmcnt(3)                                       // 0000000052B8: BF8CC37F
	v_mfma_f32_16x16x32_fp8_fp8 v[116:119], a[120:121], v[36:37], 0// 0000000052BC: D3F30074 0A024978
	v_mfma_f32_16x16x32_fp8_fp8 v[120:123], a[136:137], v[36:37], 0// 0000000052C4: D3F30078 0A024988
	v_mfma_f32_16x16x32_fp8_fp8 v[116:119], a[122:123], v[38:39], v[116:119]// 0000000052CC: D3F30074 0DD24D7A
	v_mfma_f32_16x16x32_fp8_fp8 v[120:123], a[138:139], v[38:39], v[120:123]// 0000000052D4: D3F30078 0DE24D8A
	s_waitcnt lgkmcnt(2)                                       // 0000000052DC: BF8CC27F
	v_mfma_f32_16x16x32_fp8_fp8 v[116:119], a[124:125], v[40:41], v[116:119]// 0000000052E0: D3F30074 0DD2517C
	v_mfma_f32_16x16x32_fp8_fp8 v[120:123], a[140:141], v[40:41], v[120:123]// 0000000052E8: D3F30078 0DE2518C
	v_mfma_f32_16x16x32_fp8_fp8 v[116:119], a[126:127], v[42:43], v[116:119]// 0000000052F0: D3F30074 0DD2557E
	v_mfma_f32_16x16x32_fp8_fp8 v[120:123], a[142:143], v[42:43], v[120:123]// 0000000052F8: D3F30078 0DE2558E
	s_waitcnt lgkmcnt(1)                                       // 000000005300: BF8CC17F
	v_mfma_f32_16x16x32_fp8_fp8 v[116:119], a[128:129], v[44:45], v[116:119]// 000000005304: D3F30074 0DD25980
	v_mfma_f32_16x16x32_fp8_fp8 v[120:123], a[144:145], v[44:45], v[120:123]// 00000000530C: D3F30078 0DE25990
	v_mfma_f32_16x16x32_fp8_fp8 v[116:119], a[130:131], v[46:47], v[116:119]// 000000005314: D3F30074 0DD25D82
	v_mfma_f32_16x16x32_fp8_fp8 v[120:123], a[146:147], v[46:47], v[120:123]// 00000000531C: D3F30078 0DE25D92
	s_waitcnt lgkmcnt(0)                                       // 000000005324: BF8CC07F
	v_mfma_f32_16x16x32_fp8_fp8 v[116:119], a[132:133], v[48:49], v[116:119]// 000000005328: D3F30074 0DD26184
	v_mfma_f32_16x16x32_fp8_fp8 v[120:123], a[148:149], v[48:49], v[120:123]// 000000005330: D3F30078 0DE26194
	v_mfma_f32_16x16x32_fp8_fp8 v[116:119], a[134:135], v[50:51], v[116:119]// 000000005338: D3F30074 0DD26586
	v_mfma_f32_16x16x32_fp8_fp8 v[120:123], a[150:151], v[50:51], v[120:123]// 000000005340: D3F30078 0DE26596
	s_addk_i32 s64, 0x100                                      // 000000005348: B7400100
	s_branch label_0420                                        // 00000000534C: BF82F8CC

0000000000005350 <label_0B54>:
	s_cmp_lt_i32 s64, s63                                      // 000000005350: BF043F40
	s_cbranch_scc0 label_1288                                  // 000000005354: BF840732
	s_waitcnt vmcnt(10)                                        // 000000005358: BF8C0F7A
	s_lshl_b32 s68, s76, 2                                     // 00000000535C: 8E44824C
	s_cmp_lt_u32 s76, s77                                      // 000000005360: BF0A4D4C
	s_cselect_b32 s68, s68, 0                                  // 000000005364: 85448044
	s_addk_i32 s76, 0x1                                        // 000000005368: B74C0001
	s_load_dword s59, s[42:43], s68                            // 00000000536C: C0000ED5 00000044
	s_waitcnt lgkmcnt(0)                                       // 000000005374: BF8CC07F
	s_mul_i32 s69, s59, s50                                    // 000000005378: 9245323B
	s_mul_i32 s71, s59, s66                                    // 00000000537C: 9247423B
	s_mul_i32 s54, s78, s51                                    // 000000005380: 9236334E
	s_add_u32 s69, s69, s54                                    // 000000005384: 80453645
	s_mov_b32 s70, s69                                         // 000000005388: BEC60045
	s_mul_i32 s54, s78, 4                                      // 00000000538C: 9236844E
	s_add_u32 s71, s71, s54                                    // 000000005390: 80473647
	s_add_u32 s12, s86, s69                                    // 000000005394: 800C4556
	s_addc_u32 s13, s87, 0                                     // 000000005398: 820D8057
	s_add_u32 s16, s88, s70                                    // 00000000539C: 80104658
	s_addc_u32 s17, s89, 0                                     // 0000000053A0: 82118059
	s_add_u32 s20, s90, s71                                    // 0000000053A4: 8014475A
	s_addc_u32 s21, s91, 0                                     // 0000000053A8: 8215805B
	s_add_u32 s24, s92, s71                                    // 0000000053AC: 8018475C
	s_addc_u32 s25, s93, 0                                     // 0000000053B0: 8219805D
	v_mfma_f32_16x16x32_fp8_fp8 v[4:7], a[24:25], a[0:1], 0    // 0000000053B4: D3F30004 1A020118
	v_mfma_f32_16x16x32_fp8_fp8 v[4:7], a[26:27], a[2:3], v[4:7]// 0000000053BC: D3F30004 1C12051A
	v_mfma_f32_16x16x32_fp8_fp8 v[4:7], a[28:29], a[4:5], v[4:7]// 0000000053C4: D3F30004 1C12091C
	buffer_load_dwordx4 a[56:59], v232, s[12:15], 0 offen      // 0000000053CC: E05C1000 808338E8
	v_mfma_f32_16x16x32_fp8_fp8 v[4:7], a[30:31], a[6:7], v[4:7]// 0000000053D4: D3F30004 1C120D1E
	v_mfma_f32_16x16x32_fp8_fp8 v[8:11], a[32:33], a[0:1], 0   // 0000000053DC: D3F30008 1A020120
	v_mfma_f32_16x16x32_fp8_fp8 v[8:11], a[34:35], a[2:3], v[8:11]// 0000000053E4: D3F30008 1C220522
	v_mfma_f32_16x16x32_fp8_fp8 v[8:11], a[36:37], a[4:5], v[8:11]// 0000000053EC: D3F30008 1C220924
	buffer_load_dwordx4 a[60:63], v233, s[12:15], 0 offen      // 0000000053F4: E05C1000 80833CE9
	v_mfma_f32_16x16x32_fp8_fp8 v[8:11], a[38:39], a[6:7], v[8:11]// 0000000053FC: D3F30008 1C220D26
	v_mfma_f32_16x16x32_fp8_fp8 v[12:15], a[40:41], a[0:1], 0  // 000000005404: D3F3000C 1A020128
	v_mfma_f32_16x16x32_fp8_fp8 v[12:15], a[42:43], a[2:3], v[12:15]// 00000000540C: D3F3000C 1C32052A
	v_mfma_f32_16x16x32_fp8_fp8 v[12:15], a[44:45], a[4:5], v[12:15]// 000000005414: D3F3000C 1C32092C
	buffer_load_dwordx4 a[64:67], v232, s[12:15], 0 offen offset:1024// 00000000541C: E05C1400 808340E8
	v_mfma_f32_16x16x32_fp8_fp8 v[12:15], a[46:47], a[6:7], v[12:15]// 000000005424: D3F3000C 1C320D2E
	v_mfma_f32_16x16x32_fp8_fp8 v[16:19], a[48:49], a[0:1], 0  // 00000000542C: D3F30010 1A020130
	v_mfma_f32_16x16x32_fp8_fp8 v[16:19], a[50:51], a[2:3], v[16:19]// 000000005434: D3F30010 1C420532
	v_mfma_f32_16x16x32_fp8_fp8 v[16:19], a[52:53], a[4:5], v[16:19]// 00000000543C: D3F30010 1C420934
	buffer_load_dwordx4 a[68:71], v233, s[12:15], 0 offen offset:1024// 000000005444: E05C1400 808344E9
	v_mfma_f32_16x16x32_fp8_fp8 v[16:19], a[54:55], a[6:7], v[16:19]// 00000000544C: D3F30010 1C420D36
	v_mfma_f32_16x16x32_fp8_fp8 v[20:23], a[24:25], a[8:9], 0  // 000000005454: D3F30014 1A021118
	v_mfma_f32_16x16x32_fp8_fp8 v[20:23], a[26:27], a[10:11], v[20:23]// 00000000545C: D3F30014 1C52151A
	v_mfma_f32_16x16x32_fp8_fp8 v[20:23], a[28:29], a[12:13], v[20:23]// 000000005464: D3F30014 1C52191C
	buffer_load_dwordx4 a[72:75], v232, s[12:15], 0 offen offset:2048// 00000000546C: E05C1800 808348E8
	v_mfma_f32_16x16x32_fp8_fp8 v[20:23], a[30:31], a[14:15], v[20:23]// 000000005474: D3F30014 1C521D1E
	v_mfma_f32_16x16x32_fp8_fp8 v[24:27], a[32:33], a[8:9], 0  // 00000000547C: D3F30018 1A021120
	v_mfma_f32_16x16x32_fp8_fp8 v[24:27], a[34:35], a[10:11], v[24:27]// 000000005484: D3F30018 1C621522
	v_mfma_f32_16x16x32_fp8_fp8 v[24:27], a[36:37], a[12:13], v[24:27]// 00000000548C: D3F30018 1C621924
	buffer_load_dwordx4 a[76:79], v233, s[12:15], 0 offen offset:2048// 000000005494: E05C1800 80834CE9
	v_mfma_f32_16x16x32_fp8_fp8 v[24:27], a[38:39], a[14:15], v[24:27]// 00000000549C: D3F30018 1C621D26
	v_mfma_f32_16x16x32_fp8_fp8 v[28:31], a[40:41], a[8:9], 0  // 0000000054A4: D3F3001C 1A021128
	v_mfma_f32_16x16x32_fp8_fp8 v[28:31], a[42:43], a[10:11], v[28:31]// 0000000054AC: D3F3001C 1C72152A
	v_mfma_f32_16x16x32_fp8_fp8 v[28:31], a[44:45], a[12:13], v[28:31]// 0000000054B4: D3F3001C 1C72192C
	buffer_load_dwordx4 a[80:83], v232, s[12:15], 0 offen offset:3072// 0000000054BC: E05C1C00 808350E8
	v_mfma_f32_16x16x32_fp8_fp8 v[28:31], a[46:47], a[14:15], v[28:31]// 0000000054C4: D3F3001C 1C721D2E
	v_mfma_f32_16x16x32_fp8_fp8 v[32:35], a[48:49], a[8:9], 0  // 0000000054CC: D3F30020 1A021130
	v_mfma_f32_16x16x32_fp8_fp8 v[32:35], a[50:51], a[10:11], v[32:35]// 0000000054D4: D3F30020 1C821532
	v_mfma_f32_16x16x32_fp8_fp8 v[32:35], a[52:53], a[12:13], v[32:35]// 0000000054DC: D3F30020 1C821934
	buffer_load_dwordx4 a[84:87], v233, s[12:15], 0 offen offset:3072// 0000000054E4: E05C1C00 808354E9
	v_mfma_f32_16x16x32_fp8_fp8 v[32:35], a[54:55], a[14:15], v[32:35]// 0000000054EC: D3F30020 1C821D36
	v_mfma_f32_16x16x32_fp8_fp8 v[36:39], a[24:25], a[16:17], 0// 0000000054F4: D3F30024 1A022118
	v_mfma_f32_16x16x32_fp8_fp8 v[36:39], a[26:27], a[18:19], v[36:39]// 0000000054FC: D3F30024 1C92251A
	v_mfma_f32_16x16x32_fp8_fp8 v[36:39], a[28:29], a[20:21], v[36:39]// 000000005504: D3F30024 1C92291C
	v_mfma_f32_16x16x32_fp8_fp8 v[36:39], a[30:31], a[22:23], v[36:39]// 00000000550C: D3F30024 1C922D1E
	v_mfma_f32_16x16x32_fp8_fp8 v[40:43], a[32:33], a[16:17], 0// 000000005514: D3F30028 1A022120
	v_mfma_f32_16x16x32_fp8_fp8 v[40:43], a[34:35], a[18:19], v[40:43]// 00000000551C: D3F30028 1CA22522
	v_mfma_f32_16x16x32_fp8_fp8 v[40:43], a[36:37], a[20:21], v[40:43]// 000000005524: D3F30028 1CA22924
	v_mfma_f32_16x16x32_fp8_fp8 v[40:43], a[38:39], a[22:23], v[40:43]// 00000000552C: D3F30028 1CA22D26
	v_mfma_f32_16x16x32_fp8_fp8 v[44:47], a[40:41], a[16:17], 0// 000000005534: D3F3002C 1A022128
	v_mfma_f32_16x16x32_fp8_fp8 v[44:47], a[42:43], a[18:19], v[44:47]// 00000000553C: D3F3002C 1CB2252A
	v_mfma_f32_16x16x32_fp8_fp8 v[44:47], a[44:45], a[20:21], v[44:47]// 000000005544: D3F3002C 1CB2292C
	v_mfma_f32_16x16x32_fp8_fp8 v[44:47], a[46:47], a[22:23], v[44:47]// 00000000554C: D3F3002C 1CB22D2E
	v_mfma_f32_16x16x32_fp8_fp8 v[48:51], a[48:49], a[16:17], 0// 000000005554: D3F30030 1A022130
	v_mfma_f32_16x16x32_fp8_fp8 v[48:51], a[50:51], a[18:19], v[48:51]// 00000000555C: D3F30030 1CC22532
	v_mfma_f32_16x16x32_fp8_fp8 v[48:51], a[52:53], a[20:21], v[48:51]// 000000005564: D3F30030 1CC22934
	v_mfma_f32_16x16x32_fp8_fp8 v[48:51], a[54:55], a[22:23], v[48:51]// 00000000556C: D3F30030 1CC22D36
	s_waitcnt vmcnt(16)                                        // 000000005574: BF8C4F70
	v_or_b32_dpp v36, v44, v36 row_shr:8 row_mask:0xf bank_mask:0xf bound_ctrl:1// 000000005578: 284848FA FF09182C
	v_or_b32_dpp v37, v45, v37 row_shr:8 row_mask:0xf bank_mask:0xf bound_ctrl:1// 000000005580: 284A4AFA FF09182D
	v_or_b32_dpp v38, v46, v38 row_shr:8 row_mask:0xf bank_mask:0xf bound_ctrl:1// 000000005588: 284C4CFA FF09182E
	v_or_b32_dpp v39, v47, v39 row_shr:8 row_mask:0xf bank_mask:0xf bound_ctrl:1// 000000005590: 284E4EFA FF09182F
	v_or_b32_dpp v40, v48, v40 row_shr:8 row_mask:0xf bank_mask:0xf bound_ctrl:1// 000000005598: 285050FA FF091830
	v_or_b32_dpp v41, v49, v41 row_shr:8 row_mask:0xf bank_mask:0xf bound_ctrl:1// 0000000055A0: 285252FA FF091831
	v_or_b32_dpp v42, v50, v42 row_shr:8 row_mask:0xf bank_mask:0xf bound_ctrl:1// 0000000055A8: 285454FA FF091832
	v_or_b32_dpp v43, v51, v43 row_shr:8 row_mask:0xf bank_mask:0xf bound_ctrl:1// 0000000055B0: 285656FA FF091833
	v_pk_mul_f32 v[4:5], v[148:149], v[4:5]                    // 0000000055B8: D3B14004 18020994
	v_pk_mul_f32 v[6:7], v[148:149], v[6:7]                    // 0000000055C0: D3B14006 18020D94
	v_pk_mul_f32 v[8:9], v[148:149], v[8:9]                    // 0000000055C8: D3B14008 18021194
	v_pk_mul_f32 v[10:11], v[148:149], v[10:11]                // 0000000055D0: D3B1400A 18021594
	v_pk_mul_f32 v[12:13], v[148:149], v[12:13]                // 0000000055D8: D3B1400C 18021994
	v_pk_mul_f32 v[14:15], v[148:149], v[14:15]                // 0000000055E0: D3B1400E 18021D94
	v_pk_mul_f32 v[16:17], v[148:149], v[16:17]                // 0000000055E8: D3B14010 18022194
	v_pk_mul_f32 v[18:19], v[148:149], v[18:19]                // 0000000055F0: D3B14012 18022594
	v_mul_f32_e32 v4, v154, v4                                 // 0000000055F8: 0A08099A
	v_mul_f32_e32 v5, v154, v5                                 // 0000000055FC: 0A0A0B9A
	v_mul_f32_e32 v6, v154, v6                                 // 000000005600: 0A0C0D9A
	v_mul_f32_e32 v7, v154, v7                                 // 000000005604: 0A0E0F9A
	v_mul_f32_e32 v8, v154, v8                                 // 000000005608: 0A10119A
	v_mul_f32_e32 v9, v154, v9                                 // 00000000560C: 0A12139A
	v_mul_f32_e32 v10, v154, v10                               // 000000005610: 0A14159A
	v_mul_f32_e32 v11, v154, v11                               // 000000005614: 0A16179A
	v_mul_f32_e32 v12, v154, v12                               // 000000005618: 0A18199A
	v_mul_f32_e32 v13, v154, v13                               // 00000000561C: 0A1A1B9A
	v_mul_f32_e32 v14, v154, v14                               // 000000005620: 0A1C1D9A
	v_mul_f32_e32 v15, v154, v15                               // 000000005624: 0A1E1F9A
	v_mul_f32_e32 v16, v154, v16                               // 000000005628: 0A20219A
	v_mul_f32_e32 v17, v154, v17                               // 00000000562C: 0A22239A
	v_mul_f32_e32 v18, v154, v18                               // 000000005630: 0A24259A
	v_mul_f32_e32 v19, v154, v19                               // 000000005634: 0A26279A
	v_pk_mul_f32 v[20:21], v[150:151], v[20:21]                // 000000005638: D3B14014 18022996
	v_pk_mul_f32 v[22:23], v[150:151], v[22:23]                // 000000005640: D3B14016 18022D96
	v_pk_mul_f32 v[24:25], v[150:151], v[24:25]                // 000000005648: D3B14018 18023196
	v_pk_mul_f32 v[26:27], v[150:151], v[26:27]                // 000000005650: D3B1401A 18023596
	v_pk_mul_f32 v[28:29], v[150:151], v[28:29]                // 000000005658: D3B1401C 18023996
	v_pk_mul_f32 v[30:31], v[150:151], v[30:31]                // 000000005660: D3B1401E 18023D96
	v_pk_mul_f32 v[32:33], v[150:151], v[32:33]                // 000000005668: D3B14020 18024196
	v_pk_mul_f32 v[34:35], v[150:151], v[34:35]                // 000000005670: D3B14022 18024596
	v_mul_f32_e32 v20, v154, v20                               // 000000005678: 0A28299A
	v_mul_f32_e32 v21, v154, v21                               // 00000000567C: 0A2A2B9A
	v_mul_f32_e32 v22, v154, v22                               // 000000005680: 0A2C2D9A
	v_mul_f32_e32 v23, v154, v23                               // 000000005684: 0A2E2F9A
	v_mul_f32_e32 v24, v154, v24                               // 000000005688: 0A30319A
	v_mul_f32_e32 v25, v154, v25                               // 00000000568C: 0A32339A
	v_mul_f32_e32 v26, v154, v26                               // 000000005690: 0A34359A
	v_mul_f32_e32 v27, v154, v27                               // 000000005694: 0A36379A
	v_mul_f32_e32 v28, v154, v28                               // 000000005698: 0A38399A
	v_mul_f32_e32 v29, v154, v29                               // 00000000569C: 0A3A3B9A
	v_mul_f32_e32 v30, v154, v30                               // 0000000056A0: 0A3C3D9A
	v_mul_f32_e32 v31, v154, v31                               // 0000000056A4: 0A3E3F9A
	v_mul_f32_e32 v32, v154, v32                               // 0000000056A8: 0A40419A
	v_mul_f32_e32 v33, v154, v33                               // 0000000056AC: 0A42439A
	v_mul_f32_e32 v34, v154, v34                               // 0000000056B0: 0A44459A
	v_mul_f32_e32 v35, v154, v35                               // 0000000056B4: 0A46479A
	v_pk_mul_f32 v[36:37], v[152:153], v[36:37]                // 0000000056B8: D3B14024 18024998
	v_pk_mul_f32 v[38:39], v[152:153], v[38:39]                // 0000000056C0: D3B14026 18024D98
	v_pk_mul_f32 v[40:41], v[152:153], v[40:41]                // 0000000056C8: D3B14028 18025198
	v_pk_mul_f32 v[42:43], v[152:153], v[42:43]                // 0000000056D0: D3B1402A 18025598
	v_mul_f32_e32 v36, v154, v36                               // 0000000056D8: 0A48499A
	v_mul_f32_e32 v37, v154, v37                               // 0000000056DC: 0A4A4B9A
	v_mul_f32_e32 v38, v154, v38                               // 0000000056E0: 0A4C4D9A
	v_mul_f32_e32 v39, v154, v39                               // 0000000056E4: 0A4E4F9A
	v_mul_f32_e32 v40, v154, v40                               // 0000000056E8: 0A50519A
	v_mul_f32_e32 v41, v154, v41                               // 0000000056EC: 0A52539A
	v_mul_f32_e32 v42, v154, v42                               // 0000000056F0: 0A54559A
	v_mul_f32_e32 v43, v154, v43                               // 0000000056F4: 0A56579A
	v_mov_b32_e32 v190, v36                                    // 0000000056F8: 7F7C0324
	v_max3_f32 v190, v36, v37, v190                            // 0000000056FC: D1D300BE 06FA4B24
	v_max3_f32 v190, v38, v39, v190                            // 000000005704: D1D300BE 06FA4F26
	v_max3_f32 v190, v40, v41, v190                            // 00000000570C: D1D300BE 06FA5328
	v_max3_f32 v190, v42, v43, v190                            // 000000005714: D1D300BE 06FA572A
	v_mov_b32_e32 v189, v20                                    // 00000000571C: 7F7A0314
	v_max3_f32 v189, v20, v21, v189                            // 000000005720: D1D300BD 06F62B14
	v_max3_f32 v189, v22, v23, v189                            // 000000005728: D1D300BD 06F62F16
	v_max3_f32 v189, v24, v25, v189                            // 000000005730: D1D300BD 06F63318
	v_max3_f32 v189, v26, v27, v189                            // 000000005738: D1D300BD 06F6371A
	v_max3_f32 v189, v28, v29, v189                            // 000000005740: D1D300BD 06F63B1C
	v_max3_f32 v189, v30, v31, v189                            // 000000005748: D1D300BD 06F63F1E
	v_max3_f32 v189, v32, v33, v189                            // 000000005750: D1D300BD 06F64320
	v_max3_f32 v189, v34, v35, v189                            // 000000005758: D1D300BD 06F64722
	v_mov_b32_e32 v188, v4                                     // 000000005760: 7F780304
	v_max3_f32 v188, v4, v5, v188                              // 000000005764: D1D300BC 06F20B04
	v_max3_f32 v188, v6, v7, v188                              // 00000000576C: D1D300BC 06F20F06
	v_max3_f32 v188, v8, v9, v188                              // 000000005774: D1D300BC 06F21308
	v_max3_f32 v188, v10, v11, v188                            // 00000000577C: D1D300BC 06F2170A
	v_max3_f32 v188, v12, v13, v188                            // 000000005784: D1D300BC 06F21B0C
	v_max3_f32 v188, v14, v15, v188                            // 00000000578C: D1D300BC 06F21F0E
	v_max3_f32 v188, v16, v17, v188                            // 000000005794: D1D300BC 06F22310
	v_max3_f32 v188, v18, v19, v188                            // 00000000579C: D1D300BC 06F22712
	v_max_f32_dpp v190, v190, v190 row_ror:8 row_mask:0xf bank_mask:0xf// 0000000057A4: 177D7CFA FF0128BE
	v_pk_mul_f32 v[124:125], v[200:201], v[124:125]            // 0000000057AC: D3B1407C 1802F9C8
	v_pk_mul_f32 v[126:127], v[200:201], v[126:127]            // 0000000057B4: D3B1407E 1802FDC8
	v_pk_mul_f32 v[128:129], v[200:201], v[128:129]            // 0000000057BC: D3B14080 180301C8
	v_pk_mul_f32 v[130:131], v[200:201], v[130:131]            // 0000000057C4: D3B14082 180305C8
	v_pk_mul_f32 v[132:133], v[202:203], v[132:133]            // 0000000057CC: D3B14084 180309CA
	v_pk_mul_f32 v[134:135], v[202:203], v[134:135]            // 0000000057D4: D3B14086 18030DCA
	v_pk_mul_f32 v[136:137], v[202:203], v[136:137]            // 0000000057DC: D3B14088 180311CA
	v_pk_mul_f32 v[138:139], v[202:203], v[138:139]            // 0000000057E4: D3B1408A 180315CA
	v_pk_mul_f32 v[140:141], v[204:205], v[140:141]            // 0000000057EC: D3B1408C 180319CC
	v_pk_mul_f32 v[142:143], v[204:205], v[142:143]            // 0000000057F4: D3B1408E 18031DCC
	v_pk_mul_f32 v[144:145], v[204:205], v[144:145]            // 0000000057FC: D3B14090 180321CC
	v_pk_mul_f32 v[146:147], v[204:205], v[146:147]            // 000000005804: D3B14092 180325CC
	ds_bpermute_b32 v172, v212, v188                           // 00000000580C: D87E0000 AC00BCD4
	ds_bpermute_b32 v173, v213, v188                           // 000000005814: D87E0000 AD00BCD5
	ds_bpermute_b32 v174, v214, v188                           // 00000000581C: D87E0000 AE00BCD6
	ds_bpermute_b32 v175, v212, v189                           // 000000005824: D87E0000 AF00BDD4
	ds_bpermute_b32 v176, v213, v189                           // 00000000582C: D87E0000 B000BDD5
	ds_bpermute_b32 v177, v214, v189                           // 000000005834: D87E0000 B100BDD6
	ds_bpermute_b32 v178, v212, v190                           // 00000000583C: D87E0000 B200BED4
	ds_bpermute_b32 v179, v213, v190                           // 000000005844: D87E0000 B300BED5
	ds_bpermute_b32 v180, v214, v190                           // 00000000584C: D87E0000 B400BED6
	s_waitcnt lgkmcnt(6)                                       // 000000005854: BF8CC67F
	v_max3_f32 v188, v172, v173, v188                          // 000000005858: D1D300BC 06F35BAC
	v_max_f32_e32 v188, v174, v188                             // 000000005860: 177979AE
	s_waitcnt lgkmcnt(3)                                       // 000000005864: BF8CC37F
	v_max3_f32 v189, v175, v176, v189                          // 000000005868: D1D300BD 06F761AF
	v_max_f32_e32 v189, v177, v189                             // 000000005870: 177B7BB1
	s_waitcnt lgkmcnt(0)                                       // 000000005874: BF8CC07F
	v_max3_f32 v190, v178, v179, v190                          // 000000005878: D1D300BE 06FB67B2
	v_max_f32_e32 v190, v180, v190                             // 000000005880: 177D7DB4
	ds_write_b128 v252, v[188:191]                             // 000000005884: D9BE0000 0000BCFC
	s_waitcnt lgkmcnt(0)                                       // 00000000588C: BF8CC07F
	s_barrier                                                  // 000000005890: BF8A0000
	v_pk_mul_f32 v[100:101], v[158:159], v[100:101]            // 000000005894: D3B14064 1802C99E
	v_pk_mul_f32 v[102:103], v[158:159], v[102:103]            // 00000000589C: D3B14066 1802CD9E
	v_pk_mul_f32 v[104:105], v[158:159], v[104:105]            // 0000000058A4: D3B14068 1802D19E
	v_pk_mul_f32 v[106:107], v[158:159], v[106:107]            // 0000000058AC: D3B1406A 1802D59E
	v_pk_mul_f32 v[108:109], v[160:161], v[108:109]            // 0000000058B4: D3B1406C 1802D9A0
	v_pk_mul_f32 v[110:111], v[160:161], v[110:111]            // 0000000058BC: D3B1406E 1802DDA0
	v_pk_mul_f32 v[112:113], v[160:161], v[112:113]            // 0000000058C4: D3B14070 1802E1A0
	v_pk_mul_f32 v[114:115], v[160:161], v[114:115]            // 0000000058CC: D3B14072 1802E5A0
	v_pk_mul_f32 v[116:117], v[162:163], v[116:117]            // 0000000058D4: D3B14074 1802E9A2
	v_pk_mul_f32 v[118:119], v[162:163], v[118:119]            // 0000000058DC: D3B14076 1802EDA2
	v_pk_mul_f32 v[120:121], v[162:163], v[120:121]            // 0000000058E4: D3B14078 1802F1A2
	v_pk_mul_f32 v[122:123], v[162:163], v[122:123]            // 0000000058EC: D3B1407A 1802F5A2
	ds_read_b128 v[172:175], v253                              // 0000000058F4: D9FE0000 AC0000FD
	ds_read_b128 v[176:179], v253 offset:256                   // 0000000058FC: D9FE0100 B00000FD
	ds_read_b128 v[180:183], v253 offset:512                   // 000000005904: D9FE0200 B40000FD
	ds_read_b128 v[184:187], v253 offset:768                   // 00000000590C: D9FE0300 B80000FD
	s_waitcnt lgkmcnt(0)                                       // 000000005914: BF8CC07F
	v_max3_f32 v188, v172, v176, v188                          // 000000005918: D1D300BC 06F361AC
	v_max3_f32 v189, v173, v177, v189                          // 000000005920: D1D300BD 06F763AD
	v_max3_f32 v190, v174, v178, v190                          // 000000005928: D1D300BE 06FB65AE
	v_max3_f32 v188, v180, v184, v188                          // 000000005930: D1D300BC 06F371B4
	v_max3_f32 v189, v181, v185, v189                          // 000000005938: D1D300BD 06F773B5
	v_max3_f32 v190, v182, v186, v190                          // 000000005940: D1D300BE 06FB75B6
	v_max_f32_e32 v197, v188, v194                             // 000000005948: 178B85BC
	v_mul_f32_e64 v168, -s46, v197                             // 00000000594C: D10500A8 20038A2E
	v_mov_b32_e32 v169, v168                                   // 000000005954: 7F5203A8
	v_pk_fma_f32 v[4:5], v[4:5], s[46:47], v[168:169]          // 000000005958: D3B04004 1EA05D04
	v_pk_fma_f32 v[6:7], v[6:7], s[46:47], v[168:169]          // 000000005960: D3B04006 1EA05D06
	v_exp_f32_e32 v4, v4                                       // 000000005968: 7E084104
	v_exp_f32_e32 v5, v5                                       // 00000000596C: 7E0A4105
	v_exp_f32_e32 v6, v6                                       // 000000005970: 7E0C4106
	v_exp_f32_e32 v7, v7                                       // 000000005974: 7E0E4107
	v_pk_fma_f32 v[8:9], v[8:9], s[46:47], v[168:169]          // 000000005978: D3B04008 1EA05D08
	v_pk_fma_f32 v[10:11], v[10:11], s[46:47], v[168:169]      // 000000005980: D3B0400A 1EA05D0A
	v_exp_f32_e32 v8, v8                                       // 000000005988: 7E104108
	v_exp_f32_e32 v9, v9                                       // 00000000598C: 7E124109
	v_exp_f32_e32 v10, v10                                     // 000000005990: 7E14410A
	v_exp_f32_e32 v11, v11                                     // 000000005994: 7E16410B
	v_pk_fma_f32 v[12:13], v[12:13], s[46:47], v[168:169]      // 000000005998: D3B0400C 1EA05D0C
	v_pk_fma_f32 v[14:15], v[14:15], s[46:47], v[168:169]      // 0000000059A0: D3B0400E 1EA05D0E
	v_exp_f32_e32 v12, v12                                     // 0000000059A8: 7E18410C
	v_exp_f32_e32 v13, v13                                     // 0000000059AC: 7E1A410D
	v_exp_f32_e32 v14, v14                                     // 0000000059B0: 7E1C410E
	v_exp_f32_e32 v15, v15                                     // 0000000059B4: 7E1E410F
	v_pk_fma_f32 v[16:17], v[16:17], s[46:47], v[168:169]      // 0000000059B8: D3B04010 1EA05D10
	v_pk_fma_f32 v[18:19], v[18:19], s[46:47], v[168:169]      // 0000000059C0: D3B04012 1EA05D12
	v_exp_f32_e32 v16, v16                                     // 0000000059C8: 7E204110
	v_exp_f32_e32 v17, v17                                     // 0000000059CC: 7E224111
	v_exp_f32_e32 v18, v18                                     // 0000000059D0: 7E244112
	v_exp_f32_e32 v19, v19                                     // 0000000059D4: 7E264113
	v_max_f32_e32 v198, v189, v195                             // 0000000059D8: 178D87BD
	v_mul_f32_e64 v168, -s46, v198                             // 0000000059DC: D10500A8 20038C2E
	v_mov_b32_e32 v169, v168                                   // 0000000059E4: 7F5203A8
	v_pk_fma_f32 v[20:21], v[20:21], s[46:47], v[168:169]      // 0000000059E8: D3B04014 1EA05D14
	v_pk_fma_f32 v[22:23], v[22:23], s[46:47], v[168:169]      // 0000000059F0: D3B04016 1EA05D16
	v_exp_f32_e32 v20, v20                                     // 0000000059F8: 7E284114
	v_exp_f32_e32 v21, v21                                     // 0000000059FC: 7E2A4115
	v_exp_f32_e32 v22, v22                                     // 000000005A00: 7E2C4116
	v_exp_f32_e32 v23, v23                                     // 000000005A04: 7E2E4117
	v_pk_fma_f32 v[24:25], v[24:25], s[46:47], v[168:169]      // 000000005A08: D3B04018 1EA05D18
	v_pk_fma_f32 v[26:27], v[26:27], s[46:47], v[168:169]      // 000000005A10: D3B0401A 1EA05D1A
	v_exp_f32_e32 v24, v24                                     // 000000005A18: 7E304118
	v_exp_f32_e32 v25, v25                                     // 000000005A1C: 7E324119
	v_exp_f32_e32 v26, v26                                     // 000000005A20: 7E34411A
	v_exp_f32_e32 v27, v27                                     // 000000005A24: 7E36411B
	v_pk_fma_f32 v[28:29], v[28:29], s[46:47], v[168:169]      // 000000005A28: D3B0401C 1EA05D1C
	v_pk_fma_f32 v[30:31], v[30:31], s[46:47], v[168:169]      // 000000005A30: D3B0401E 1EA05D1E
	v_exp_f32_e32 v28, v28                                     // 000000005A38: 7E38411C
	v_exp_f32_e32 v29, v29                                     // 000000005A3C: 7E3A411D
	v_exp_f32_e32 v30, v30                                     // 000000005A40: 7E3C411E
	v_exp_f32_e32 v31, v31                                     // 000000005A44: 7E3E411F
	v_pk_fma_f32 v[32:33], v[32:33], s[46:47], v[168:169]      // 000000005A48: D3B04020 1EA05D20
	v_pk_fma_f32 v[34:35], v[34:35], s[46:47], v[168:169]      // 000000005A50: D3B04022 1EA05D22
	v_exp_f32_e32 v32, v32                                     // 000000005A58: 7E404120
	v_exp_f32_e32 v33, v33                                     // 000000005A5C: 7E424121
	v_exp_f32_e32 v34, v34                                     // 000000005A60: 7E444122
	v_exp_f32_e32 v35, v35                                     // 000000005A64: 7E464123
	v_max_f32_e32 v199, v190, v196                             // 000000005A68: 178F89BE
	v_mul_f32_e64 v168, -s46, v199                             // 000000005A6C: D10500A8 20038E2E
	v_mov_b32_e32 v169, v168                                   // 000000005A74: 7F5203A8
	v_pk_fma_f32 v[36:37], v[36:37], s[46:47], v[168:169]      // 000000005A78: D3B04024 1EA05D24
	v_pk_fma_f32 v[38:39], v[38:39], s[46:47], v[168:169]      // 000000005A80: D3B04026 1EA05D26
	v_exp_f32_e32 v36, v36                                     // 000000005A88: 7E484124
	v_exp_f32_e32 v37, v37                                     // 000000005A8C: 7E4A4125
	v_exp_f32_e32 v38, v38                                     // 000000005A90: 7E4C4126
	v_exp_f32_e32 v39, v39                                     // 000000005A94: 7E4E4127
	v_pk_fma_f32 v[40:41], v[40:41], s[46:47], v[168:169]      // 000000005A98: D3B04028 1EA05D28
	v_pk_fma_f32 v[42:43], v[42:43], s[46:47], v[168:169]      // 000000005AA0: D3B0402A 1EA05D2A
	v_exp_f32_e32 v40, v40                                     // 000000005AA8: 7E504128
	v_exp_f32_e32 v41, v41                                     // 000000005AAC: 7E524129
	v_exp_f32_e32 v42, v42                                     // 000000005AB0: 7E54412A
	v_exp_f32_e32 v43, v43                                     // 000000005AB4: 7E56412B
	v_mul_f32_e32 v52, v156, v4                                // 000000005AB8: 0A68099C
	v_mul_f32_e32 v53, v156, v5                                // 000000005ABC: 0A6A0B9C
	v_mul_f32_e32 v54, v156, v6                                // 000000005AC0: 0A6C0D9C
	v_mul_f32_e32 v55, v156, v7                                // 000000005AC4: 0A6E0F9C
	v_mul_f32_e32 v56, v156, v8                                // 000000005AC8: 0A70119C
	v_mul_f32_e32 v57, v156, v9                                // 000000005ACC: 0A72139C
	v_mul_f32_e32 v58, v156, v10                               // 000000005AD0: 0A74159C
	v_mul_f32_e32 v59, v156, v11                               // 000000005AD4: 0A76179C
	v_mul_f32_e32 v60, v156, v12                               // 000000005AD8: 0A78199C
	v_mul_f32_e32 v61, v156, v13                               // 000000005ADC: 0A7A1B9C
	v_mul_f32_e32 v62, v156, v14                               // 000000005AE0: 0A7C1D9C
	v_mul_f32_e32 v63, v156, v15                               // 000000005AE4: 0A7E1F9C
	v_mul_f32_e32 v64, v156, v16                               // 000000005AE8: 0A80219C
	v_mul_f32_e32 v65, v156, v17                               // 000000005AEC: 0A82239C
	v_mul_f32_e32 v66, v156, v18                               // 000000005AF0: 0A84259C
	v_mul_f32_e32 v67, v156, v19                               // 000000005AF4: 0A86279C
	v_mul_f32_e32 v68, v156, v20                               // 000000005AF8: 0A88299C
	v_mul_f32_e32 v69, v156, v21                               // 000000005AFC: 0A8A2B9C
	v_mul_f32_e32 v70, v156, v22                               // 000000005B00: 0A8C2D9C
	v_mul_f32_e32 v71, v156, v23                               // 000000005B04: 0A8E2F9C
	v_mul_f32_e32 v72, v156, v24                               // 000000005B08: 0A90319C
	v_mul_f32_e32 v73, v156, v25                               // 000000005B0C: 0A92339C
	v_mul_f32_e32 v74, v156, v26                               // 000000005B10: 0A94359C
	v_mul_f32_e32 v75, v156, v27                               // 000000005B14: 0A96379C
	v_mul_f32_e32 v76, v156, v28                               // 000000005B18: 0A98399C
	v_mul_f32_e32 v77, v156, v29                               // 000000005B1C: 0A9A3B9C
	v_mul_f32_e32 v78, v156, v30                               // 000000005B20: 0A9C3D9C
	v_mul_f32_e32 v79, v156, v31                               // 000000005B24: 0A9E3F9C
	v_mul_f32_e32 v80, v156, v32                               // 000000005B28: 0AA0419C
	v_mul_f32_e32 v81, v156, v33                               // 000000005B2C: 0AA2439C
	v_mul_f32_e32 v82, v156, v34                               // 000000005B30: 0AA4459C
	v_mul_f32_e32 v83, v156, v35                               // 000000005B34: 0AA6479C
	v_mul_f32_e32 v84, v156, v36                               // 000000005B38: 0AA8499C
	v_mul_f32_e32 v85, v156, v37                               // 000000005B3C: 0AAA4B9C
	v_mul_f32_e32 v86, v156, v38                               // 000000005B40: 0AAC4D9C
	v_mul_f32_e32 v87, v156, v39                               // 000000005B44: 0AAE4F9C
	v_mul_f32_e32 v88, v156, v40                               // 000000005B48: 0AB0519C
	v_mul_f32_e32 v89, v156, v41                               // 000000005B4C: 0AB2539C
	v_mul_f32_e32 v90, v156, v42                               // 000000005B50: 0AB4559C
	v_mul_f32_e32 v91, v156, v43                               // 000000005B54: 0AB6579C
	buffer_load_dword v155, v238, s[20:23], 0 offen            // 000000005B58: E0501000 80059BEE
	v_sub_f32_e32 v200, v194, v197                             // 000000005B60: 05918BC2
	v_cmp_eq_u32_e64 s[98:99], v225, v194                      // 000000005B64: D0CA0062 000385E1
	v_cndmask_b32_e64 v200, v200, 0, s[98:99]                  // 000000005B6C: D10000C8 018901C8
	v_mov_b32_e32 v194, v197                                   // 000000005B74: 7F8403C5
	v_mul_f32_e32 v200, s46, v200                              // 000000005B78: 0B91902E
	v_exp_f32_e32 v200, v200                                   // 000000005B7C: 7F9041C8
	v_sub_f32_e32 v202, v195, v198                             // 000000005B80: 05958DC3
	v_cmp_eq_u32_e64 s[98:99], v225, v195                      // 000000005B84: D0CA0062 000387E1
	v_cndmask_b32_e64 v202, v202, 0, s[98:99]                  // 000000005B8C: D10000CA 018901CA
	v_mov_b32_e32 v195, v198                                   // 000000005B94: 7F8603C6
	v_mul_f32_e32 v202, s46, v202                              // 000000005B98: 0B95942E
	v_exp_f32_e32 v202, v202                                   // 000000005B9C: 7F9441CA
	v_sub_f32_e32 v204, v196, v199                             // 000000005BA0: 05998FC4
	v_cmp_eq_u32_e64 s[98:99], v225, v196                      // 000000005BA4: D0CA0062 000389E1
	v_cndmask_b32_e64 v204, v204, 0, s[98:99]                  // 000000005BAC: D10000CC 018901CC
	v_mov_b32_e32 v196, v199                                   // 000000005BB4: 7F8803C7
	v_mul_f32_e32 v204, s46, v204                              // 000000005BB8: 0B99982E
	v_exp_f32_e32 v204, v204                                   // 000000005BBC: 7F9841CC
	v_mov_b32_e32 v201, v200                                   // 000000005BC0: 7F9203C8
	v_mov_b32_e32 v203, v202                                   // 000000005BC4: 7F9603CA
	v_mov_b32_e32 v205, v204                                   // 000000005BC8: 7F9A03CC
	s_waitcnt lgkmcnt(0)                                       // 000000005BCC: BF8CC07F
	s_barrier                                                  // 000000005BD0: BF8A0000
	buffer_load_dword v157, v239, s[24:27], 0 offen            // 000000005BD4: E0501000 80069DEF
	v_mul_f32_e32 v206, v200, v206                             // 000000005BDC: 0B9D9DC8
	v_mov_b32_e32 v207, 0                                      // 000000005BE0: 7F9E0280
	v_pk_add_f32 v[206:207], v[4:5], v[206:207]                // 000000005BE4: D3B240CE 18039D04
	v_pk_add_f32 v[206:207], v[6:7], v[206:207]                // 000000005BEC: D3B240CE 18039D06
	v_pk_add_f32 v[206:207], v[8:9], v[206:207]                // 000000005BF4: D3B240CE 18039D08
	v_pk_add_f32 v[206:207], v[10:11], v[206:207]              // 000000005BFC: D3B240CE 18039D0A
	v_pk_add_f32 v[206:207], v[12:13], v[206:207]              // 000000005C04: D3B240CE 18039D0C
	v_pk_add_f32 v[206:207], v[14:15], v[206:207]              // 000000005C0C: D3B240CE 18039D0E
	v_pk_add_f32 v[206:207], v[16:17], v[206:207]              // 000000005C14: D3B240CE 18039D10
	v_pk_add_f32 v[206:207], v[18:19], v[206:207]              // 000000005C1C: D3B240CE 18039D12
	v_add_f32_e32 v206, v207, v206                             // 000000005C24: 039D9DCF
	v_mul_f32_e32 v208, v202, v208                             // 000000005C28: 0BA1A1CA
	v_mov_b32_e32 v209, 0                                      // 000000005C2C: 7FA20280
	v_pk_add_f32 v[208:209], v[20:21], v[208:209]              // 000000005C30: D3B240D0 1803A114
	v_pk_add_f32 v[208:209], v[22:23], v[208:209]              // 000000005C38: D3B240D0 1803A116
	v_pk_add_f32 v[208:209], v[24:25], v[208:209]              // 000000005C40: D3B240D0 1803A118
	v_pk_add_f32 v[208:209], v[26:27], v[208:209]              // 000000005C48: D3B240D0 1803A11A
	v_pk_add_f32 v[208:209], v[28:29], v[208:209]              // 000000005C50: D3B240D0 1803A11C
	v_pk_add_f32 v[208:209], v[30:31], v[208:209]              // 000000005C58: D3B240D0 1803A11E
	v_pk_add_f32 v[208:209], v[32:33], v[208:209]              // 000000005C60: D3B240D0 1803A120
	v_pk_add_f32 v[208:209], v[34:35], v[208:209]              // 000000005C68: D3B240D0 1803A122
	v_add_f32_e32 v208, v209, v208                             // 000000005C70: 03A1A1D1
	v_mul_f32_e32 v210, v204, v210                             // 000000005C74: 0BA5A5CC
	v_mov_b32_e32 v211, 0                                      // 000000005C78: 7FA60280
	v_pk_add_f32 v[210:211], v[36:37], v[210:211]              // 000000005C7C: D3B240D2 1803A524
	v_pk_add_f32 v[210:211], v[38:39], v[210:211]              // 000000005C84: D3B240D2 1803A526
	v_pk_add_f32 v[210:211], v[40:41], v[210:211]              // 000000005C8C: D3B240D2 1803A528
	v_pk_add_f32 v[210:211], v[42:43], v[210:211]              // 000000005C94: D3B240D2 1803A52A
	v_add_f32_e32 v210, v211, v210                             // 000000005C9C: 03A5A5D3
	s_waitcnt lgkmcnt(0)                                       // 000000005CA0: BF8CC07F
	v_sub_f32_e32 v188, v188, v194                             // 000000005CA4: 057985BC
	v_sub_f32_e32 v189, v189, v195                             // 000000005CA8: 057B87BD
	v_sub_f32_e32 v190, v190, v196                             // 000000005CAC: 057D89BE
	v_mul_f32_e32 v188, s46, v188                              // 000000005CB0: 0B79782E
	v_mul_f32_e32 v189, s46, v189                              // 000000005CB4: 0B7B7A2E
	v_mul_f32_e32 v190, s46, v190                              // 000000005CB8: 0B7D7C2E
	v_exp_f32_e32 v188, v188                                   // 000000005CBC: 7F7841BC
	v_exp_f32_e32 v189, v189                                   // 000000005CC0: 7F7A41BD
	v_exp_f32_e32 v190, v190                                   // 000000005CC4: 7F7C41BE
	v_mul_f32_e32 v188, v156, v188                             // 000000005CC8: 0B79799C
	v_mul_f32_e32 v189, v156, v189                             // 000000005CCC: 0B7B7B9C
	v_mul_f32_e32 v190, v156, v190                             // 000000005CD0: 0B7D7D9C
	v_add_f32_e32 v188, 0x3089705f, v188                       // 000000005CD4: 037978FF 3089705F
	v_add_f32_e32 v189, 0x3089705f, v189                       // 000000005CDC: 037B7AFF 3089705F
	v_add_f32_e32 v190, 0x3089705f, v190                       // 000000005CE4: 037D7CFF 3089705F
	v_rcp_f32_e32 v188, v188                                   // 000000005CEC: 7F7845BC
	v_rcp_f32_e32 v189, v189                                   // 000000005CF0: 7F7A45BD
	v_rcp_f32_e32 v190, v190                                   // 000000005CF4: 7F7C45BE
	v_mul_f32_e32 v188, 0x43700000, v188                       // 000000005CF8: 0B7978FF 43700000
	v_mul_f32_e32 v189, 0x43700000, v189                       // 000000005D00: 0B7B7AFF 43700000
	v_mul_f32_e32 v190, 0x43700000, v190                       // 000000005D08: 0B7D7CFF 43700000
	v_mov_b32_e32 v192, v190                                   // 000000005D10: 7F8003BE
	v_mov_b32_e32 v193, v190                                   // 000000005D14: 7F8203BE
	v_mov_b32_e32 v190, v189                                   // 000000005D18: 7F7C03BD
	v_mov_b32_e32 v191, v189                                   // 000000005D1C: 7F7E03BD
	v_mov_b32_e32 v189, v188                                   // 000000005D20: 7F7A03BC
	v_pk_mul_f32 v[4:5], v[188:189], v[52:53]                  // 000000005D24: D3B14004 180269BC
	v_pk_mul_f32 v[6:7], v[188:189], v[54:55]                  // 000000005D2C: D3B14006 18026DBC
	v_pk_mul_f32 v[8:9], v[188:189], v[56:57]                  // 000000005D34: D3B14008 180271BC
	v_pk_mul_f32 v[10:11], v[188:189], v[58:59]                // 000000005D3C: D3B1400A 180275BC
	v_pk_mul_f32 v[12:13], v[188:189], v[60:61]                // 000000005D44: D3B1400C 180279BC
	v_pk_mul_f32 v[14:15], v[188:189], v[62:63]                // 000000005D4C: D3B1400E 18027DBC
	v_pk_mul_f32 v[16:17], v[188:189], v[64:65]                // 000000005D54: D3B14010 180281BC
	v_pk_mul_f32 v[18:19], v[188:189], v[66:67]                // 000000005D5C: D3B14012 180285BC
	v_pk_mul_f32 v[20:21], v[190:191], v[68:69]                // 000000005D64: D3B14014 180289BE
	v_pk_mul_f32 v[22:23], v[190:191], v[70:71]                // 000000005D6C: D3B14016 18028DBE
	v_pk_mul_f32 v[24:25], v[190:191], v[72:73]                // 000000005D74: D3B14018 180291BE
	v_pk_mul_f32 v[26:27], v[190:191], v[74:75]                // 000000005D7C: D3B1401A 180295BE
	v_pk_mul_f32 v[28:29], v[190:191], v[76:77]                // 000000005D84: D3B1401C 180299BE
	v_pk_mul_f32 v[30:31], v[190:191], v[78:79]                // 000000005D8C: D3B1401E 18029DBE
	v_pk_mul_f32 v[32:33], v[190:191], v[80:81]                // 000000005D94: D3B14020 1802A1BE
	v_pk_mul_f32 v[34:35], v[190:191], v[82:83]                // 000000005D9C: D3B14022 1802A5BE
	v_pk_mul_f32 v[36:37], v[192:193], v[84:85]                // 000000005DA4: D3B14024 1802A9C0
	v_pk_mul_f32 v[38:39], v[192:193], v[86:87]                // 000000005DAC: D3B14026 1802ADC0
	v_pk_mul_f32 v[40:41], v[192:193], v[88:89]                // 000000005DB4: D3B14028 1802B1C0
	v_pk_mul_f32 v[42:43], v[192:193], v[90:91]                // 000000005DBC: D3B1402A 1802B5C0
	v_cvt_pk_fp8_f32 v4, v4, v5                                // 000000005DC4: D2A20004 00020B04
	v_cvt_pk_fp8_f32 v4, v6, v7 op_sel:[0,0,1]                 // 000000005DCC: D2A24004 00020F06
	v_cvt_pk_fp8_f32 v5, v8, v9                                // 000000005DD4: D2A20005 00021308
	v_cvt_pk_fp8_f32 v5, v10, v11 op_sel:[0,0,1]               // 000000005DDC: D2A24005 0002170A
	v_cvt_pk_fp8_f32 v6, v12, v13                              // 000000005DE4: D2A20006 00021B0C
	v_cvt_pk_fp8_f32 v6, v14, v15 op_sel:[0,0,1]               // 000000005DEC: D2A24006 00021F0E
	v_cvt_pk_fp8_f32 v7, v16, v17                              // 000000005DF4: D2A20007 00022310
	v_cvt_pk_fp8_f32 v7, v18, v19 op_sel:[0,0,1]               // 000000005DFC: D2A24007 00022712
	v_cvt_pk_fp8_f32 v8, v20, v21                              // 000000005E04: D2A20008 00022B14
	v_cvt_pk_fp8_f32 v8, v22, v23 op_sel:[0,0,1]               // 000000005E0C: D2A24008 00022F16
	v_cvt_pk_fp8_f32 v9, v24, v25                              // 000000005E14: D2A20009 00023318
	v_cvt_pk_fp8_f32 v9, v26, v27 op_sel:[0,0,1]               // 000000005E1C: D2A24009 0002371A
	v_cvt_pk_fp8_f32 v10, v28, v29                             // 000000005E24: D2A2000A 00023B1C
	v_cvt_pk_fp8_f32 v10, v30, v31 op_sel:[0,0,1]              // 000000005E2C: D2A2400A 00023F1E
	v_cvt_pk_fp8_f32 v11, v32, v33                             // 000000005E34: D2A2000B 00024320
	v_cvt_pk_fp8_f32 v11, v34, v35 op_sel:[0,0,1]              // 000000005E3C: D2A2400B 00024722
	v_cvt_pk_fp8_f32 v12, v36, v37                             // 000000005E44: D2A2000C 00024B24
	v_cvt_pk_fp8_f32 v12, v38, v39 op_sel:[0,0,1]              // 000000005E4C: D2A2400C 00024F26
	v_cvt_pk_fp8_f32 v13, v40, v41                             // 000000005E54: D2A2000D 00025328
	v_cvt_pk_fp8_f32 v13, v42, v43 op_sel:[0,0,1]              // 000000005E5C: D2A2400D 0002572A
	v_mov_b32_dpp v14, v12 row_shl:8 row_mask:0xf bank_mask:0xf bound_ctrl:1// 000000005E64: 7E1C02FA FF09080C
	v_and_b32_e32 v12, v12, v224                               // 000000005E6C: 2619C10C
	v_mov_b32_dpp v15, v13 row_shl:8 row_mask:0xf bank_mask:0xf bound_ctrl:1// 000000005E70: 7E1E02FA FF09080D
	v_and_b32_e32 v13, v13, v224                               // 000000005E78: 261BC10D
	ds_write_b32 v254, v4 offset:8192                          // 000000005E7C: D81A2000 000004FE
	ds_write_b32 v254, v5 offset:9216                          // 000000005E84: D81A2400 000005FE
	ds_write_b32 v254, v6 offset:10240                         // 000000005E8C: D81A2800 000006FE
	ds_write_b32 v254, v7 offset:11264                         // 000000005E94: D81A2C00 000007FE
	ds_write_b32 v254, v8 offset:12288                         // 000000005E9C: D81A3000 000008FE
	ds_write_b32 v254, v9 offset:13312                         // 000000005EA4: D81A3400 000009FE
	ds_write_b32 v254, v10 offset:14336                        // 000000005EAC: D81A3800 00000AFE
	ds_write_b32 v254, v11 offset:15360                        // 000000005EB4: D81A3C00 00000BFE
	ds_write_b32 v254, v12 offset:16384                        // 000000005EBC: D81A4000 00000CFE
	ds_write_b32 v254, v13 offset:17408                        // 000000005EC4: D81A4400 00000DFE
	ds_write_b32 v254, v14 offset:18432                        // 000000005ECC: D81A4800 00000EFE
	ds_write_b32 v254, v15 offset:19456                        // 000000005ED4: D81A4C00 00000FFE
	v_rcp_f32_e32 v158, v188                                   // 000000005EDC: 7F3C45BC
	v_rcp_f32_e32 v160, v190                                   // 000000005EE0: 7F4045BE
	v_rcp_f32_e32 v162, v192                                   // 000000005EE4: 7F4445C0
	v_mov_b32_e32 v159, v158                                   // 000000005EE8: 7F3E039E
	v_mov_b32_e32 v161, v160                                   // 000000005EEC: 7F4203A0
	v_mov_b32_e32 v163, v162                                   // 000000005EF0: 7F4603A2
	v_pk_add_f32 v[124:125], v[124:125], v[100:101]            // 000000005EF4: D3B2407C 1802C97C
	v_pk_add_f32 v[126:127], v[126:127], v[102:103]            // 000000005EFC: D3B2407E 1802CD7E
	v_pk_add_f32 v[128:129], v[128:129], v[104:105]            // 000000005F04: D3B24080 1802D180
	v_pk_add_f32 v[130:131], v[130:131], v[106:107]            // 000000005F0C: D3B24082 1802D582
	v_pk_add_f32 v[132:133], v[132:133], v[108:109]            // 000000005F14: D3B24084 1802D984
	v_pk_add_f32 v[134:135], v[134:135], v[110:111]            // 000000005F1C: D3B24086 1802DD86
	v_pk_add_f32 v[136:137], v[136:137], v[112:113]            // 000000005F24: D3B24088 1802E188
	v_pk_add_f32 v[138:139], v[138:139], v[114:115]            // 000000005F2C: D3B2408A 1802E58A
	v_pk_add_f32 v[140:141], v[140:141], v[116:117]            // 000000005F34: D3B2408C 1802E98C
	v_pk_add_f32 v[142:143], v[142:143], v[118:119]            // 000000005F3C: D3B2408E 1802ED8E
	v_pk_add_f32 v[144:145], v[144:145], v[120:121]            // 000000005F44: D3B24090 1802F190
	v_pk_add_f32 v[146:147], v[146:147], v[122:123]            // 000000005F4C: D3B24092 1802F592
	s_waitcnt lgkmcnt(0)                                       // 000000005F54: BF8CC07F
	s_barrier                                                  // 000000005F58: BF8A0000
	ds_read_b128 v[4:7], v255 offset:8192                      // 000000005F5C: D9FE2000 040000FF
	ds_read_b128 v[8:11], v255 offset:9216                     // 000000005F64: D9FE2400 080000FF
	ds_read_b128 v[12:15], v255 offset:10240                   // 000000005F6C: D9FE2800 0C0000FF
	ds_read_b128 v[16:19], v255 offset:11264                   // 000000005F74: D9FE2C00 100000FF
	ds_read_b128 v[20:23], v255 offset:12288                   // 000000005F7C: D9FE3000 140000FF
	ds_read_b128 v[24:27], v255 offset:13312                   // 000000005F84: D9FE3400 180000FF
	ds_read_b128 v[28:31], v255 offset:14336                   // 000000005F8C: D9FE3800 1C0000FF
	ds_read_b128 v[32:35], v255 offset:15360                   // 000000005F94: D9FE3C00 200000FF
	ds_read_b128 v[36:39], v255 offset:16384                   // 000000005F9C: D9FE4000 240000FF
	ds_read_b128 v[40:43], v255 offset:17408                   // 000000005FA4: D9FE4400 280000FF
	ds_read_b128 v[44:47], v255 offset:18432                   // 000000005FAC: D9FE4800 2C0000FF
	ds_read_b128 v[48:51], v255 offset:19456                   // 000000005FB4: D9FE4C00 300000FF
	s_waitcnt vmcnt(10)                                        // 000000005FBC: BF8C0F7A
	s_waitcnt lgkmcnt(11)                                      // 000000005FC0: BF8CCB7F
	v_mfma_f32_16x16x32_fp8_fp8 v[100:103], a[88:89], v[4:5], 0// 000000005FC4: D3F30064 0A020958
	v_mfma_f32_16x16x32_fp8_fp8 v[104:107], a[104:105], v[4:5], 0// 000000005FCC: D3F30068 0A020968
	v_mfma_f32_16x16x32_fp8_fp8 v[100:103], a[90:91], v[6:7], v[100:103]// 000000005FD4: D3F30064 0D920D5A
	buffer_load_dwordx4 a[120:123], v234, s[16:19], 0 offen    // 000000005FDC: E05C1000 808478EA
	v_mfma_f32_16x16x32_fp8_fp8 v[104:107], a[106:107], v[6:7], v[104:107]// 000000005FE4: D3F30068 0DA20D6A
	s_waitcnt lgkmcnt(10)                                      // 000000005FEC: BF8CCA7F
	v_mfma_f32_16x16x32_fp8_fp8 v[100:103], a[92:93], v[8:9], v[100:103]// 000000005FF0: D3F30064 0D92115C
	v_mfma_f32_16x16x32_fp8_fp8 v[104:107], a[108:109], v[8:9], v[104:107]// 000000005FF8: D3F30068 0DA2116C
	v_mfma_f32_16x16x32_fp8_fp8 v[100:103], a[94:95], v[10:11], v[100:103]// 000000006000: D3F30064 0D92155E
	buffer_load_dwordx4 a[124:127], v235, s[16:19], 0 offen    // 000000006008: E05C1000 80847CEB
	v_mfma_f32_16x16x32_fp8_fp8 v[104:107], a[110:111], v[10:11], v[104:107]// 000000006010: D3F30068 0DA2156E
	s_waitcnt lgkmcnt(9)                                       // 000000006018: BF8CC97F
	v_mfma_f32_16x16x32_fp8_fp8 v[100:103], a[96:97], v[12:13], v[100:103]// 00000000601C: D3F30064 0D921960
	v_mfma_f32_16x16x32_fp8_fp8 v[104:107], a[112:113], v[12:13], v[104:107]// 000000006024: D3F30068 0DA21970
	v_mfma_f32_16x16x32_fp8_fp8 v[100:103], a[98:99], v[14:15], v[100:103]// 00000000602C: D3F30064 0D921D62
	buffer_load_dwordx4 a[128:131], v236, s[16:19], 0 offen    // 000000006034: E05C1000 808480EC
	v_mfma_f32_16x16x32_fp8_fp8 v[104:107], a[114:115], v[14:15], v[104:107]// 00000000603C: D3F30068 0DA21D72
	s_waitcnt lgkmcnt(8)                                       // 000000006044: BF8CC87F
	v_mfma_f32_16x16x32_fp8_fp8 v[100:103], a[100:101], v[16:17], v[100:103]// 000000006048: D3F30064 0D922164
	v_mfma_f32_16x16x32_fp8_fp8 v[104:107], a[116:117], v[16:17], v[104:107]// 000000006050: D3F30068 0DA22174
	v_mfma_f32_16x16x32_fp8_fp8 v[100:103], a[102:103], v[18:19], v[100:103]// 000000006058: D3F30064 0D922566
	buffer_load_dwordx4 a[132:135], v237, s[16:19], 0 offen    // 000000006060: E05C1000 808484ED
	v_mfma_f32_16x16x32_fp8_fp8 v[104:107], a[118:119], v[18:19], v[104:107]// 000000006068: D3F30068 0DA22576
	s_waitcnt lgkmcnt(7)                                       // 000000006070: BF8CC77F
	v_mfma_f32_16x16x32_fp8_fp8 v[108:111], a[88:89], v[20:21], 0// 000000006074: D3F3006C 0A022958
	v_mfma_f32_16x16x32_fp8_fp8 v[112:115], a[104:105], v[20:21], 0// 00000000607C: D3F30070 0A022968
	v_mfma_f32_16x16x32_fp8_fp8 v[108:111], a[90:91], v[22:23], v[108:111]// 000000006084: D3F3006C 0DB22D5A
	buffer_load_dwordx4 a[136:139], v234, s[16:19], 0 offen offset:1024// 00000000608C: E05C1400 808488EA
	v_mfma_f32_16x16x32_fp8_fp8 v[112:115], a[106:107], v[22:23], v[112:115]// 000000006094: D3F30070 0DC22D6A
	s_waitcnt lgkmcnt(6)                                       // 00000000609C: BF8CC67F
	v_mfma_f32_16x16x32_fp8_fp8 v[108:111], a[92:93], v[24:25], v[108:111]// 0000000060A0: D3F3006C 0DB2315C
	v_mfma_f32_16x16x32_fp8_fp8 v[112:115], a[108:109], v[24:25], v[112:115]// 0000000060A8: D3F30070 0DC2316C
	v_mfma_f32_16x16x32_fp8_fp8 v[108:111], a[94:95], v[26:27], v[108:111]// 0000000060B0: D3F3006C 0DB2355E
	buffer_load_dwordx4 a[140:143], v235, s[16:19], 0 offen offset:1024// 0000000060B8: E05C1400 80848CEB
	v_mfma_f32_16x16x32_fp8_fp8 v[112:115], a[110:111], v[26:27], v[112:115]// 0000000060C0: D3F30070 0DC2356E
	s_waitcnt lgkmcnt(5)                                       // 0000000060C8: BF8CC57F
	v_mfma_f32_16x16x32_fp8_fp8 v[108:111], a[96:97], v[28:29], v[108:111]// 0000000060CC: D3F3006C 0DB23960
	v_mfma_f32_16x16x32_fp8_fp8 v[112:115], a[112:113], v[28:29], v[112:115]// 0000000060D4: D3F30070 0DC23970
	v_mfma_f32_16x16x32_fp8_fp8 v[108:111], a[98:99], v[30:31], v[108:111]// 0000000060DC: D3F3006C 0DB23D62
	buffer_load_dwordx4 a[144:147], v236, s[16:19], 0 offen offset:1024// 0000000060E4: E05C1400 808490EC
	v_mfma_f32_16x16x32_fp8_fp8 v[112:115], a[114:115], v[30:31], v[112:115]// 0000000060EC: D3F30070 0DC23D72
	s_waitcnt lgkmcnt(4)                                       // 0000000060F4: BF8CC47F
	v_mfma_f32_16x16x32_fp8_fp8 v[108:111], a[100:101], v[32:33], v[108:111]// 0000000060F8: D3F3006C 0DB24164
	v_mfma_f32_16x16x32_fp8_fp8 v[112:115], a[116:117], v[32:33], v[112:115]// 000000006100: D3F30070 0DC24174
	v_mfma_f32_16x16x32_fp8_fp8 v[108:111], a[102:103], v[34:35], v[108:111]// 000000006108: D3F3006C 0DB24566
	buffer_load_dwordx4 a[148:151], v237, s[16:19], 0 offen offset:1024// 000000006110: E05C1400 808494ED
	v_mfma_f32_16x16x32_fp8_fp8 v[112:115], a[118:119], v[34:35], v[112:115]// 000000006118: D3F30070 0DC24576
	s_waitcnt lgkmcnt(3)                                       // 000000006120: BF8CC37F
	v_mfma_f32_16x16x32_fp8_fp8 v[116:119], a[88:89], v[36:37], 0// 000000006124: D3F30074 0A024958
	v_mfma_f32_16x16x32_fp8_fp8 v[120:123], a[104:105], v[36:37], 0// 00000000612C: D3F30078 0A024968
	v_mfma_f32_16x16x32_fp8_fp8 v[116:119], a[90:91], v[38:39], v[116:119]// 000000006134: D3F30074 0DD24D5A
	v_mfma_f32_16x16x32_fp8_fp8 v[120:123], a[106:107], v[38:39], v[120:123]// 00000000613C: D3F30078 0DE24D6A
	s_waitcnt lgkmcnt(2)                                       // 000000006144: BF8CC27F
	v_mfma_f32_16x16x32_fp8_fp8 v[116:119], a[92:93], v[40:41], v[116:119]// 000000006148: D3F30074 0DD2515C
	v_mfma_f32_16x16x32_fp8_fp8 v[120:123], a[108:109], v[40:41], v[120:123]// 000000006150: D3F30078 0DE2516C
	v_mfma_f32_16x16x32_fp8_fp8 v[116:119], a[94:95], v[42:43], v[116:119]// 000000006158: D3F30074 0DD2555E
	v_mfma_f32_16x16x32_fp8_fp8 v[120:123], a[110:111], v[42:43], v[120:123]// 000000006160: D3F30078 0DE2556E
	s_waitcnt lgkmcnt(1)                                       // 000000006168: BF8CC17F
	v_mfma_f32_16x16x32_fp8_fp8 v[116:119], a[96:97], v[44:45], v[116:119]// 00000000616C: D3F30074 0DD25960
	v_mfma_f32_16x16x32_fp8_fp8 v[120:123], a[112:113], v[44:45], v[120:123]// 000000006174: D3F30078 0DE25970
	v_mfma_f32_16x16x32_fp8_fp8 v[116:119], a[98:99], v[46:47], v[116:119]// 00000000617C: D3F30074 0DD25D62
	v_mfma_f32_16x16x32_fp8_fp8 v[120:123], a[114:115], v[46:47], v[120:123]// 000000006184: D3F30078 0DE25D72
	s_waitcnt lgkmcnt(0)                                       // 00000000618C: BF8CC07F
	v_mfma_f32_16x16x32_fp8_fp8 v[116:119], a[100:101], v[48:49], v[116:119]// 000000006190: D3F30074 0DD26164
	v_mfma_f32_16x16x32_fp8_fp8 v[120:123], a[116:117], v[48:49], v[120:123]// 000000006198: D3F30078 0DE26174
	v_mfma_f32_16x16x32_fp8_fp8 v[116:119], a[102:103], v[50:51], v[116:119]// 0000000061A0: D3F30074 0DD26566
	v_mfma_f32_16x16x32_fp8_fp8 v[120:123], a[118:119], v[50:51], v[120:123]// 0000000061A8: D3F30078 0DE26576
	s_addk_i32 s64, 0x100                                      // 0000000061B0: B7400100
	s_branch label_0EEE                                        // 0000000061B4: BF820000

00000000000061b8 <label_0EEE>:
	s_cmp_lt_i32 s64, s63                                      // 0000000061B8: BF043F40
	s_cbranch_scc0 label_1949                                  // 0000000061BC: BF840A59
	s_waitcnt vmcnt(10)                                        // 0000000061C0: BF8C0F7A
	s_lshl_b32 s68, s76, 2                                     // 0000000061C4: 8E44824C
	s_cmp_lt_u32 s76, s77                                      // 0000000061C8: BF0A4D4C
	s_cselect_b32 s68, s68, 0                                  // 0000000061CC: 85448044
	s_addk_i32 s76, 0x1                                        // 0000000061D0: B74C0001
	s_load_dword s59, s[42:43], s68                            // 0000000061D4: C0000ED5 00000044
	s_waitcnt lgkmcnt(0)                                       // 0000000061DC: BF8CC07F
	s_mul_i32 s69, s59, s50                                    // 0000000061E0: 9245323B
	s_mul_i32 s71, s59, s66                                    // 0000000061E4: 9247423B
	s_mul_i32 s54, s78, s51                                    // 0000000061E8: 9236334E
	s_add_u32 s69, s69, s54                                    // 0000000061EC: 80453645
	s_mov_b32 s70, s69                                         // 0000000061F0: BEC60045
	s_mul_i32 s54, s78, 4                                      // 0000000061F4: 9236844E
	s_add_u32 s71, s71, s54                                    // 0000000061F8: 80473647
	s_add_u32 s12, s86, s69                                    // 0000000061FC: 800C4556
	s_addc_u32 s13, s87, 0                                     // 000000006200: 820D8057
	s_add_u32 s16, s88, s70                                    // 000000006204: 80104658
	s_addc_u32 s17, s89, 0                                     // 000000006208: 82118059
	s_add_u32 s20, s90, s71                                    // 00000000620C: 8014475A
	s_addc_u32 s21, s91, 0                                     // 000000006210: 8215805B
	s_add_u32 s24, s92, s71                                    // 000000006214: 8018475C
	s_addc_u32 s25, s93, 0                                     // 000000006218: 8219805D
	v_mfma_f32_16x16x32_fp8_fp8 v[4:7], a[56:57], a[0:1], 0    // 00000000621C: D3F30004 1A020138
	v_mfma_f32_16x16x32_fp8_fp8 v[4:7], a[58:59], a[2:3], v[4:7]// 000000006224: D3F30004 1C12053A
	v_mfma_f32_16x16x32_fp8_fp8 v[4:7], a[60:61], a[4:5], v[4:7]// 00000000622C: D3F30004 1C12093C
	buffer_load_dwordx4 a[24:27], v232, s[12:15], 0 offen      // 000000006234: E05C1000 808318E8
	v_mfma_f32_16x16x32_fp8_fp8 v[4:7], a[62:63], a[6:7], v[4:7]// 00000000623C: D3F30004 1C120D3E
	v_mfma_f32_16x16x32_fp8_fp8 v[8:11], a[64:65], a[0:1], 0   // 000000006244: D3F30008 1A020140
	v_mfma_f32_16x16x32_fp8_fp8 v[8:11], a[66:67], a[2:3], v[8:11]// 00000000624C: D3F30008 1C220542
	v_mfma_f32_16x16x32_fp8_fp8 v[8:11], a[68:69], a[4:5], v[8:11]// 000000006254: D3F30008 1C220944
	buffer_load_dwordx4 a[28:31], v233, s[12:15], 0 offen      // 00000000625C: E05C1000 80831CE9
	v_mfma_f32_16x16x32_fp8_fp8 v[8:11], a[70:71], a[6:7], v[8:11]// 000000006264: D3F30008 1C220D46
	v_mfma_f32_16x16x32_fp8_fp8 v[12:15], a[72:73], a[0:1], 0  // 00000000626C: D3F3000C 1A020148
	v_mfma_f32_16x16x32_fp8_fp8 v[12:15], a[74:75], a[2:3], v[12:15]// 000000006274: D3F3000C 1C32054A
	v_mfma_f32_16x16x32_fp8_fp8 v[12:15], a[76:77], a[4:5], v[12:15]// 00000000627C: D3F3000C 1C32094C
	buffer_load_dwordx4 a[32:35], v232, s[12:15], 0 offen offset:1024// 000000006284: E05C1400 808320E8
	v_mfma_f32_16x16x32_fp8_fp8 v[12:15], a[78:79], a[6:7], v[12:15]// 00000000628C: D3F3000C 1C320D4E
	v_mfma_f32_16x16x32_fp8_fp8 v[16:19], a[80:81], a[0:1], 0  // 000000006294: D3F30010 1A020150
	v_mfma_f32_16x16x32_fp8_fp8 v[16:19], a[82:83], a[2:3], v[16:19]// 00000000629C: D3F30010 1C420552
	v_mfma_f32_16x16x32_fp8_fp8 v[16:19], a[84:85], a[4:5], v[16:19]// 0000000062A4: D3F30010 1C420954
	buffer_load_dwordx4 a[36:39], v233, s[12:15], 0 offen offset:1024// 0000000062AC: E05C1400 808324E9
	v_mfma_f32_16x16x32_fp8_fp8 v[16:19], a[86:87], a[6:7], v[16:19]// 0000000062B4: D3F30010 1C420D56
	v_mfma_f32_16x16x32_fp8_fp8 v[20:23], a[56:57], a[8:9], 0  // 0000000062BC: D3F30014 1A021138
	v_mfma_f32_16x16x32_fp8_fp8 v[20:23], a[58:59], a[10:11], v[20:23]// 0000000062C4: D3F30014 1C52153A
	v_mfma_f32_16x16x32_fp8_fp8 v[20:23], a[60:61], a[12:13], v[20:23]// 0000000062CC: D3F30014 1C52193C
	buffer_load_dwordx4 a[40:43], v232, s[12:15], 0 offen offset:2048// 0000000062D4: E05C1800 808328E8
	v_mfma_f32_16x16x32_fp8_fp8 v[20:23], a[62:63], a[14:15], v[20:23]// 0000000062DC: D3F30014 1C521D3E
	v_mfma_f32_16x16x32_fp8_fp8 v[24:27], a[64:65], a[8:9], 0  // 0000000062E4: D3F30018 1A021140
	v_mfma_f32_16x16x32_fp8_fp8 v[24:27], a[66:67], a[10:11], v[24:27]// 0000000062EC: D3F30018 1C621542
	v_mfma_f32_16x16x32_fp8_fp8 v[24:27], a[68:69], a[12:13], v[24:27]// 0000000062F4: D3F30018 1C621944
	buffer_load_dwordx4 a[44:47], v233, s[12:15], 0 offen offset:2048// 0000000062FC: E05C1800 80832CE9
	v_mfma_f32_16x16x32_fp8_fp8 v[24:27], a[70:71], a[14:15], v[24:27]// 000000006304: D3F30018 1C621D46
	v_mfma_f32_16x16x32_fp8_fp8 v[28:31], a[72:73], a[8:9], 0  // 00000000630C: D3F3001C 1A021148
	v_mfma_f32_16x16x32_fp8_fp8 v[28:31], a[74:75], a[10:11], v[28:31]// 000000006314: D3F3001C 1C72154A
	v_mfma_f32_16x16x32_fp8_fp8 v[28:31], a[76:77], a[12:13], v[28:31]// 00000000631C: D3F3001C 1C72194C
	buffer_load_dwordx4 a[48:51], v232, s[12:15], 0 offen offset:3072// 000000006324: E05C1C00 808330E8
	v_mfma_f32_16x16x32_fp8_fp8 v[28:31], a[78:79], a[14:15], v[28:31]// 00000000632C: D3F3001C 1C721D4E
	v_mfma_f32_16x16x32_fp8_fp8 v[32:35], a[80:81], a[8:9], 0  // 000000006334: D3F30020 1A021150
	v_mfma_f32_16x16x32_fp8_fp8 v[32:35], a[82:83], a[10:11], v[32:35]// 00000000633C: D3F30020 1C821552
	v_mfma_f32_16x16x32_fp8_fp8 v[32:35], a[84:85], a[12:13], v[32:35]// 000000006344: D3F30020 1C821954
	buffer_load_dwordx4 a[52:55], v233, s[12:15], 0 offen offset:3072// 00000000634C: E05C1C00 808334E9
	v_mfma_f32_16x16x32_fp8_fp8 v[32:35], a[86:87], a[14:15], v[32:35]// 000000006354: D3F30020 1C821D56
	v_mfma_f32_16x16x32_fp8_fp8 v[36:39], a[56:57], a[16:17], 0// 00000000635C: D3F30024 1A022138
	v_mfma_f32_16x16x32_fp8_fp8 v[36:39], a[58:59], a[18:19], v[36:39]// 000000006364: D3F30024 1C92253A
	v_mfma_f32_16x16x32_fp8_fp8 v[36:39], a[60:61], a[20:21], v[36:39]// 00000000636C: D3F30024 1C92293C
	v_mfma_f32_16x16x32_fp8_fp8 v[36:39], a[62:63], a[22:23], v[36:39]// 000000006374: D3F30024 1C922D3E
	v_mfma_f32_16x16x32_fp8_fp8 v[40:43], a[64:65], a[16:17], 0// 00000000637C: D3F30028 1A022140
	v_mfma_f32_16x16x32_fp8_fp8 v[40:43], a[66:67], a[18:19], v[40:43]// 000000006384: D3F30028 1CA22542
	v_mfma_f32_16x16x32_fp8_fp8 v[40:43], a[68:69], a[20:21], v[40:43]// 00000000638C: D3F30028 1CA22944
	v_mfma_f32_16x16x32_fp8_fp8 v[40:43], a[70:71], a[22:23], v[40:43]// 000000006394: D3F30028 1CA22D46
	v_mfma_f32_16x16x32_fp8_fp8 v[44:47], a[72:73], a[16:17], 0// 00000000639C: D3F3002C 1A022148
	v_mfma_f32_16x16x32_fp8_fp8 v[44:47], a[74:75], a[18:19], v[44:47]// 0000000063A4: D3F3002C 1CB2254A
	v_mfma_f32_16x16x32_fp8_fp8 v[44:47], a[76:77], a[20:21], v[44:47]// 0000000063AC: D3F3002C 1CB2294C
	v_mfma_f32_16x16x32_fp8_fp8 v[44:47], a[78:79], a[22:23], v[44:47]// 0000000063B4: D3F3002C 1CB22D4E
	v_mfma_f32_16x16x32_fp8_fp8 v[48:51], a[80:81], a[16:17], 0// 0000000063BC: D3F30030 1A022150
	v_mfma_f32_16x16x32_fp8_fp8 v[48:51], a[82:83], a[18:19], v[48:51]// 0000000063C4: D3F30030 1CC22552
	v_mfma_f32_16x16x32_fp8_fp8 v[48:51], a[84:85], a[20:21], v[48:51]// 0000000063CC: D3F30030 1CC22954
	v_mfma_f32_16x16x32_fp8_fp8 v[48:51], a[86:87], a[22:23], v[48:51]// 0000000063D4: D3F30030 1CC22D56
	s_waitcnt vmcnt(16)                                        // 0000000063DC: BF8C4F70
	v_or_b32_dpp v36, v44, v36 row_shr:8 row_mask:0xf bank_mask:0xf bound_ctrl:1// 0000000063E0: 284848FA FF09182C
	v_or_b32_dpp v37, v45, v37 row_shr:8 row_mask:0xf bank_mask:0xf bound_ctrl:1// 0000000063E8: 284A4AFA FF09182D
	v_or_b32_dpp v38, v46, v38 row_shr:8 row_mask:0xf bank_mask:0xf bound_ctrl:1// 0000000063F0: 284C4CFA FF09182E
	v_or_b32_dpp v39, v47, v39 row_shr:8 row_mask:0xf bank_mask:0xf bound_ctrl:1// 0000000063F8: 284E4EFA FF09182F
	v_or_b32_dpp v40, v48, v40 row_shr:8 row_mask:0xf bank_mask:0xf bound_ctrl:1// 000000006400: 285050FA FF091830
	v_or_b32_dpp v41, v49, v41 row_shr:8 row_mask:0xf bank_mask:0xf bound_ctrl:1// 000000006408: 285252FA FF091831
	v_or_b32_dpp v42, v50, v42 row_shr:8 row_mask:0xf bank_mask:0xf bound_ctrl:1// 000000006410: 285454FA FF091832
	v_or_b32_dpp v43, v51, v43 row_shr:8 row_mask:0xf bank_mask:0xf bound_ctrl:1// 000000006418: 285656FA FF091833
	v_pk_mul_f32 v[4:5], v[148:149], v[4:5]                    // 000000006420: D3B14004 18020994
	v_pk_mul_f32 v[6:7], v[148:149], v[6:7]                    // 000000006428: D3B14006 18020D94
	v_pk_mul_f32 v[8:9], v[148:149], v[8:9]                    // 000000006430: D3B14008 18021194
	v_pk_mul_f32 v[10:11], v[148:149], v[10:11]                // 000000006438: D3B1400A 18021594
	v_pk_mul_f32 v[12:13], v[148:149], v[12:13]                // 000000006440: D3B1400C 18021994
	v_pk_mul_f32 v[14:15], v[148:149], v[14:15]                // 000000006448: D3B1400E 18021D94
	v_pk_mul_f32 v[16:17], v[148:149], v[16:17]                // 000000006450: D3B14010 18022194
	v_pk_mul_f32 v[18:19], v[148:149], v[18:19]                // 000000006458: D3B14012 18022594
	v_mul_f32_e32 v4, v155, v4                                 // 000000006460: 0A08099B
	v_mul_f32_e32 v5, v155, v5                                 // 000000006464: 0A0A0B9B
	v_mul_f32_e32 v6, v155, v6                                 // 000000006468: 0A0C0D9B
	v_mul_f32_e32 v7, v155, v7                                 // 00000000646C: 0A0E0F9B
	v_mul_f32_e32 v8, v155, v8                                 // 000000006470: 0A10119B
	v_mul_f32_e32 v9, v155, v9                                 // 000000006474: 0A12139B
	v_mul_f32_e32 v10, v155, v10                               // 000000006478: 0A14159B
	v_mul_f32_e32 v11, v155, v11                               // 00000000647C: 0A16179B
	v_mul_f32_e32 v12, v155, v12                               // 000000006480: 0A18199B
	v_mul_f32_e32 v13, v155, v13                               // 000000006484: 0A1A1B9B
	v_mul_f32_e32 v14, v155, v14                               // 000000006488: 0A1C1D9B
	v_mul_f32_e32 v15, v155, v15                               // 00000000648C: 0A1E1F9B
	v_mul_f32_e32 v16, v155, v16                               // 000000006490: 0A20219B
	v_mul_f32_e32 v17, v155, v17                               // 000000006494: 0A22239B
	v_mul_f32_e32 v18, v155, v18                               // 000000006498: 0A24259B
	v_mul_f32_e32 v19, v155, v19                               // 00000000649C: 0A26279B
	v_pk_mul_f32 v[20:21], v[150:151], v[20:21]                // 0000000064A0: D3B14014 18022996
	v_pk_mul_f32 v[22:23], v[150:151], v[22:23]                // 0000000064A8: D3B14016 18022D96
	v_pk_mul_f32 v[24:25], v[150:151], v[24:25]                // 0000000064B0: D3B14018 18023196
	v_pk_mul_f32 v[26:27], v[150:151], v[26:27]                // 0000000064B8: D3B1401A 18023596
	v_pk_mul_f32 v[28:29], v[150:151], v[28:29]                // 0000000064C0: D3B1401C 18023996
	v_pk_mul_f32 v[30:31], v[150:151], v[30:31]                // 0000000064C8: D3B1401E 18023D96
	v_pk_mul_f32 v[32:33], v[150:151], v[32:33]                // 0000000064D0: D3B14020 18024196
	v_pk_mul_f32 v[34:35], v[150:151], v[34:35]                // 0000000064D8: D3B14022 18024596
	v_mul_f32_e32 v20, v155, v20                               // 0000000064E0: 0A28299B
	v_mul_f32_e32 v21, v155, v21                               // 0000000064E4: 0A2A2B9B
	v_mul_f32_e32 v22, v155, v22                               // 0000000064E8: 0A2C2D9B
	v_mul_f32_e32 v23, v155, v23                               // 0000000064EC: 0A2E2F9B
	v_mul_f32_e32 v24, v155, v24                               // 0000000064F0: 0A30319B
	v_mul_f32_e32 v25, v155, v25                               // 0000000064F4: 0A32339B
	v_mul_f32_e32 v26, v155, v26                               // 0000000064F8: 0A34359B
	v_mul_f32_e32 v27, v155, v27                               // 0000000064FC: 0A36379B
	v_mul_f32_e32 v28, v155, v28                               // 000000006500: 0A38399B
	v_mul_f32_e32 v29, v155, v29                               // 000000006504: 0A3A3B9B
	v_mul_f32_e32 v30, v155, v30                               // 000000006508: 0A3C3D9B
	v_mul_f32_e32 v31, v155, v31                               // 00000000650C: 0A3E3F9B
	v_mul_f32_e32 v32, v155, v32                               // 000000006510: 0A40419B
	v_mul_f32_e32 v33, v155, v33                               // 000000006514: 0A42439B
	v_mul_f32_e32 v34, v155, v34                               // 000000006518: 0A44459B
	v_mul_f32_e32 v35, v155, v35                               // 00000000651C: 0A46479B
	v_pk_mul_f32 v[36:37], v[152:153], v[36:37]                // 000000006520: D3B14024 18024998
	v_pk_mul_f32 v[38:39], v[152:153], v[38:39]                // 000000006528: D3B14026 18024D98
	v_pk_mul_f32 v[40:41], v[152:153], v[40:41]                // 000000006530: D3B14028 18025198
	v_pk_mul_f32 v[42:43], v[152:153], v[42:43]                // 000000006538: D3B1402A 18025598
	v_mul_f32_e32 v36, v155, v36                               // 000000006540: 0A48499B
	v_mul_f32_e32 v37, v155, v37                               // 000000006544: 0A4A4B9B
	v_mul_f32_e32 v38, v155, v38                               // 000000006548: 0A4C4D9B
	v_mul_f32_e32 v39, v155, v39                               // 00000000654C: 0A4E4F9B
	v_mul_f32_e32 v40, v155, v40                               // 000000006550: 0A50519B
	v_mul_f32_e32 v41, v155, v41                               // 000000006554: 0A52539B
	v_mul_f32_e32 v42, v155, v42                               // 000000006558: 0A54559B
	v_mul_f32_e32 v43, v155, v43                               // 00000000655C: 0A56579B
	v_mov_b32_e32 v190, v36                                    // 000000006560: 7F7C0324
	v_max3_f32 v190, v36, v37, v190                            // 000000006564: D1D300BE 06FA4B24
	v_max3_f32 v190, v38, v39, v190                            // 00000000656C: D1D300BE 06FA4F26
	v_max3_f32 v190, v40, v41, v190                            // 000000006574: D1D300BE 06FA5328
	v_max3_f32 v190, v42, v43, v190                            // 00000000657C: D1D300BE 06FA572A
	v_mov_b32_e32 v189, v20                                    // 000000006584: 7F7A0314
	v_max3_f32 v189, v20, v21, v189                            // 000000006588: D1D300BD 06F62B14
	v_max3_f32 v189, v22, v23, v189                            // 000000006590: D1D300BD 06F62F16
	v_max3_f32 v189, v24, v25, v189                            // 000000006598: D1D300BD 06F63318
	v_max3_f32 v189, v26, v27, v189                            // 0000000065A0: D1D300BD 06F6371A
	v_max3_f32 v189, v28, v29, v189                            // 0000000065A8: D1D300BD 06F63B1C
	v_max3_f32 v189, v30, v31, v189                            // 0000000065B0: D1D300BD 06F63F1E
	v_max3_f32 v189, v32, v33, v189                            // 0000000065B8: D1D300BD 06F64320
	v_max3_f32 v189, v34, v35, v189                            // 0000000065C0: D1D300BD 06F64722
	v_mov_b32_e32 v188, v4                                     // 0000000065C8: 7F780304
	v_max3_f32 v188, v4, v5, v188                              // 0000000065CC: D1D300BC 06F20B04
	v_max3_f32 v188, v6, v7, v188                              // 0000000065D4: D1D300BC 06F20F06
	v_max3_f32 v188, v8, v9, v188                              // 0000000065DC: D1D300BC 06F21308
	v_max3_f32 v188, v10, v11, v188                            // 0000000065E4: D1D300BC 06F2170A
	v_max3_f32 v188, v12, v13, v188                            // 0000000065EC: D1D300BC 06F21B0C
	v_max3_f32 v188, v14, v15, v188                            // 0000000065F4: D1D300BC 06F21F0E
	v_max3_f32 v188, v16, v17, v188                            // 0000000065FC: D1D300BC 06F22310
	v_max3_f32 v188, v18, v19, v188                            // 000000006604: D1D300BC 06F22712
	v_max_f32_dpp v190, v190, v190 row_ror:8 row_mask:0xf bank_mask:0xf// 00000000660C: 177D7CFA FF0128BE
	v_pk_mul_f32 v[124:125], v[200:201], v[124:125]            // 000000006614: D3B1407C 1802F9C8
	v_pk_mul_f32 v[126:127], v[200:201], v[126:127]            // 00000000661C: D3B1407E 1802FDC8
	v_pk_mul_f32 v[128:129], v[200:201], v[128:129]            // 000000006624: D3B14080 180301C8
	v_pk_mul_f32 v[130:131], v[200:201], v[130:131]            // 00000000662C: D3B14082 180305C8
	v_pk_mul_f32 v[132:133], v[202:203], v[132:133]            // 000000006634: D3B14084 180309CA
	v_pk_mul_f32 v[134:135], v[202:203], v[134:135]            // 00000000663C: D3B14086 18030DCA
	v_pk_mul_f32 v[136:137], v[202:203], v[136:137]            // 000000006644: D3B14088 180311CA
	v_pk_mul_f32 v[138:139], v[202:203], v[138:139]            // 00000000664C: D3B1408A 180315CA
	v_pk_mul_f32 v[140:141], v[204:205], v[140:141]            // 000000006654: D3B1408C 180319CC
	v_pk_mul_f32 v[142:143], v[204:205], v[142:143]            // 00000000665C: D3B1408E 18031DCC
	v_pk_mul_f32 v[144:145], v[204:205], v[144:145]            // 000000006664: D3B14090 180321CC
	v_pk_mul_f32 v[146:147], v[204:205], v[146:147]            // 00000000666C: D3B14092 180325CC
	ds_bpermute_b32 v172, v212, v188                           // 000000006674: D87E0000 AC00BCD4
	ds_bpermute_b32 v173, v213, v188                           // 00000000667C: D87E0000 AD00BCD5
	ds_bpermute_b32 v174, v214, v188                           // 000000006684: D87E0000 AE00BCD6
	ds_bpermute_b32 v175, v212, v189                           // 00000000668C: D87E0000 AF00BDD4
	ds_bpermute_b32 v176, v213, v189                           // 000000006694: D87E0000 B000BDD5
	ds_bpermute_b32 v177, v214, v189                           // 00000000669C: D87E0000 B100BDD6
	ds_bpermute_b32 v178, v212, v190                           // 0000000066A4: D87E0000 B200BED4
	ds_bpermute_b32 v179, v213, v190                           // 0000000066AC: D87E0000 B300BED5
	ds_bpermute_b32 v180, v214, v190                           // 0000000066B4: D87E0000 B400BED6
	s_waitcnt lgkmcnt(6)                                       // 0000000066BC: BF8CC67F
	v_max3_f32 v188, v172, v173, v188                          // 0000000066C0: D1D300BC 06F35BAC
	v_max_f32_e32 v188, v174, v188                             // 0000000066C8: 177979AE
	s_waitcnt lgkmcnt(3)                                       // 0000000066CC: BF8CC37F
	v_max3_f32 v189, v175, v176, v189                          // 0000000066D0: D1D300BD 06F761AF
	v_max_f32_e32 v189, v177, v189                             // 0000000066D8: 177B7BB1
	s_waitcnt lgkmcnt(0)                                       // 0000000066DC: BF8CC07F
	v_max3_f32 v190, v178, v179, v190                          // 0000000066E0: D1D300BE 06FB67B2
	v_max_f32_e32 v190, v180, v190                             // 0000000066E8: 177D7DB4
	ds_write_b128 v252, v[188:191]                             // 0000000066EC: D9BE0000 0000BCFC
	s_waitcnt lgkmcnt(0)                                       // 0000000066F4: BF8CC07F
	s_barrier                                                  // 0000000066F8: BF8A0000
	v_pk_mul_f32 v[100:101], v[158:159], v[100:101]            // 0000000066FC: D3B14064 1802C99E
	v_pk_mul_f32 v[102:103], v[158:159], v[102:103]            // 000000006704: D3B14066 1802CD9E
	v_pk_mul_f32 v[104:105], v[158:159], v[104:105]            // 00000000670C: D3B14068 1802D19E
	v_pk_mul_f32 v[106:107], v[158:159], v[106:107]            // 000000006714: D3B1406A 1802D59E
	v_pk_mul_f32 v[108:109], v[160:161], v[108:109]            // 00000000671C: D3B1406C 1802D9A0
	v_pk_mul_f32 v[110:111], v[160:161], v[110:111]            // 000000006724: D3B1406E 1802DDA0
	v_pk_mul_f32 v[112:113], v[160:161], v[112:113]            // 00000000672C: D3B14070 1802E1A0
	v_pk_mul_f32 v[114:115], v[160:161], v[114:115]            // 000000006734: D3B14072 1802E5A0
	v_pk_mul_f32 v[116:117], v[162:163], v[116:117]            // 00000000673C: D3B14074 1802E9A2
	v_pk_mul_f32 v[118:119], v[162:163], v[118:119]            // 000000006744: D3B14076 1802EDA2
	v_pk_mul_f32 v[120:121], v[162:163], v[120:121]            // 00000000674C: D3B14078 1802F1A2
	v_pk_mul_f32 v[122:123], v[162:163], v[122:123]            // 000000006754: D3B1407A 1802F5A2
	ds_read_b128 v[172:175], v253                              // 00000000675C: D9FE0000 AC0000FD
	ds_read_b128 v[176:179], v253 offset:256                   // 000000006764: D9FE0100 B00000FD
	ds_read_b128 v[180:183], v253 offset:512                   // 00000000676C: D9FE0200 B40000FD
	ds_read_b128 v[184:187], v253 offset:768                   // 000000006774: D9FE0300 B80000FD
	s_waitcnt lgkmcnt(0)                                       // 00000000677C: BF8CC07F
	v_max3_f32 v188, v172, v176, v188                          // 000000006780: D1D300BC 06F361AC
	v_max3_f32 v189, v173, v177, v189                          // 000000006788: D1D300BD 06F763AD
	v_max3_f32 v190, v174, v178, v190                          // 000000006790: D1D300BE 06FB65AE
	v_max3_f32 v188, v180, v184, v188                          // 000000006798: D1D300BC 06F371B4
	v_max3_f32 v189, v181, v185, v189                          // 0000000067A0: D1D300BD 06F773B5
	v_max3_f32 v190, v182, v186, v190                          // 0000000067A8: D1D300BE 06FB75B6
	v_max_f32_e32 v197, v188, v194                             // 0000000067B0: 178B85BC
	v_mul_f32_e64 v168, -s46, v197                             // 0000000067B4: D10500A8 20038A2E
	v_mov_b32_e32 v169, v168                                   // 0000000067BC: 7F5203A8
	v_pk_fma_f32 v[4:5], v[4:5], s[46:47], v[168:169]          // 0000000067C0: D3B04004 1EA05D04
	v_pk_fma_f32 v[6:7], v[6:7], s[46:47], v[168:169]          // 0000000067C8: D3B04006 1EA05D06
	v_exp_f32_e32 v4, v4                                       // 0000000067D0: 7E084104
	v_exp_f32_e32 v5, v5                                       // 0000000067D4: 7E0A4105
	v_exp_f32_e32 v6, v6                                       // 0000000067D8: 7E0C4106
	v_exp_f32_e32 v7, v7                                       // 0000000067DC: 7E0E4107
	v_pk_fma_f32 v[8:9], v[8:9], s[46:47], v[168:169]          // 0000000067E0: D3B04008 1EA05D08
	v_pk_fma_f32 v[10:11], v[10:11], s[46:47], v[168:169]      // 0000000067E8: D3B0400A 1EA05D0A
	v_exp_f32_e32 v8, v8                                       // 0000000067F0: 7E104108
	v_exp_f32_e32 v9, v9                                       // 0000000067F4: 7E124109
	v_exp_f32_e32 v10, v10                                     // 0000000067F8: 7E14410A
	v_exp_f32_e32 v11, v11                                     // 0000000067FC: 7E16410B
	v_pk_fma_f32 v[12:13], v[12:13], s[46:47], v[168:169]      // 000000006800: D3B0400C 1EA05D0C
	v_pk_fma_f32 v[14:15], v[14:15], s[46:47], v[168:169]      // 000000006808: D3B0400E 1EA05D0E
	v_exp_f32_e32 v12, v12                                     // 000000006810: 7E18410C
	v_exp_f32_e32 v13, v13                                     // 000000006814: 7E1A410D
	v_exp_f32_e32 v14, v14                                     // 000000006818: 7E1C410E
	v_exp_f32_e32 v15, v15                                     // 00000000681C: 7E1E410F
	v_pk_fma_f32 v[16:17], v[16:17], s[46:47], v[168:169]      // 000000006820: D3B04010 1EA05D10
	v_pk_fma_f32 v[18:19], v[18:19], s[46:47], v[168:169]      // 000000006828: D3B04012 1EA05D12
	v_exp_f32_e32 v16, v16                                     // 000000006830: 7E204110
	v_exp_f32_e32 v17, v17                                     // 000000006834: 7E224111
	v_exp_f32_e32 v18, v18                                     // 000000006838: 7E244112
	v_exp_f32_e32 v19, v19                                     // 00000000683C: 7E264113
	v_max_f32_e32 v198, v189, v195                             // 000000006840: 178D87BD
	v_mul_f32_e64 v168, -s46, v198                             // 000000006844: D10500A8 20038C2E
	v_mov_b32_e32 v169, v168                                   // 00000000684C: 7F5203A8
	v_pk_fma_f32 v[20:21], v[20:21], s[46:47], v[168:169]      // 000000006850: D3B04014 1EA05D14
	v_pk_fma_f32 v[22:23], v[22:23], s[46:47], v[168:169]      // 000000006858: D3B04016 1EA05D16
	v_exp_f32_e32 v20, v20                                     // 000000006860: 7E284114
	v_exp_f32_e32 v21, v21                                     // 000000006864: 7E2A4115
	v_exp_f32_e32 v22, v22                                     // 000000006868: 7E2C4116
	v_exp_f32_e32 v23, v23                                     // 00000000686C: 7E2E4117
	v_pk_fma_f32 v[24:25], v[24:25], s[46:47], v[168:169]      // 000000006870: D3B04018 1EA05D18
	v_pk_fma_f32 v[26:27], v[26:27], s[46:47], v[168:169]      // 000000006878: D3B0401A 1EA05D1A
	v_exp_f32_e32 v24, v24                                     // 000000006880: 7E304118
	v_exp_f32_e32 v25, v25                                     // 000000006884: 7E324119
	v_exp_f32_e32 v26, v26                                     // 000000006888: 7E34411A
	v_exp_f32_e32 v27, v27                                     // 00000000688C: 7E36411B
	v_pk_fma_f32 v[28:29], v[28:29], s[46:47], v[168:169]      // 000000006890: D3B0401C 1EA05D1C
	v_pk_fma_f32 v[30:31], v[30:31], s[46:47], v[168:169]      // 000000006898: D3B0401E 1EA05D1E
	v_exp_f32_e32 v28, v28                                     // 0000000068A0: 7E38411C
	v_exp_f32_e32 v29, v29                                     // 0000000068A4: 7E3A411D
	v_exp_f32_e32 v30, v30                                     // 0000000068A8: 7E3C411E
	v_exp_f32_e32 v31, v31                                     // 0000000068AC: 7E3E411F
	v_pk_fma_f32 v[32:33], v[32:33], s[46:47], v[168:169]      // 0000000068B0: D3B04020 1EA05D20
	v_pk_fma_f32 v[34:35], v[34:35], s[46:47], v[168:169]      // 0000000068B8: D3B04022 1EA05D22
	v_exp_f32_e32 v32, v32                                     // 0000000068C0: 7E404120
	v_exp_f32_e32 v33, v33                                     // 0000000068C4: 7E424121
	v_exp_f32_e32 v34, v34                                     // 0000000068C8: 7E444122
	v_exp_f32_e32 v35, v35                                     // 0000000068CC: 7E464123
	v_max_f32_e32 v199, v190, v196                             // 0000000068D0: 178F89BE
	v_mul_f32_e64 v168, -s46, v199                             // 0000000068D4: D10500A8 20038E2E
	v_mov_b32_e32 v169, v168                                   // 0000000068DC: 7F5203A8
	v_pk_fma_f32 v[36:37], v[36:37], s[46:47], v[168:169]      // 0000000068E0: D3B04024 1EA05D24
	v_pk_fma_f32 v[38:39], v[38:39], s[46:47], v[168:169]      // 0000000068E8: D3B04026 1EA05D26
	v_exp_f32_e32 v36, v36                                     // 0000000068F0: 7E484124
	v_exp_f32_e32 v37, v37                                     // 0000000068F4: 7E4A4125
	v_exp_f32_e32 v38, v38                                     // 0000000068F8: 7E4C4126
	v_exp_f32_e32 v39, v39                                     // 0000000068FC: 7E4E4127
	v_pk_fma_f32 v[40:41], v[40:41], s[46:47], v[168:169]      // 000000006900: D3B04028 1EA05D28
	v_pk_fma_f32 v[42:43], v[42:43], s[46:47], v[168:169]      // 000000006908: D3B0402A 1EA05D2A
	v_exp_f32_e32 v40, v40                                     // 000000006910: 7E504128
	v_exp_f32_e32 v41, v41                                     // 000000006914: 7E524129
	v_exp_f32_e32 v42, v42                                     // 000000006918: 7E54412A
	v_exp_f32_e32 v43, v43                                     // 00000000691C: 7E56412B
	v_mul_f32_e32 v52, v157, v4                                // 000000006920: 0A68099D
	v_mul_f32_e32 v53, v157, v5                                // 000000006924: 0A6A0B9D
	v_mul_f32_e32 v54, v157, v6                                // 000000006928: 0A6C0D9D
	v_mul_f32_e32 v55, v157, v7                                // 00000000692C: 0A6E0F9D
	v_mul_f32_e32 v56, v157, v8                                // 000000006930: 0A70119D
	v_mul_f32_e32 v57, v157, v9                                // 000000006934: 0A72139D
	v_mul_f32_e32 v58, v157, v10                               // 000000006938: 0A74159D
	v_mul_f32_e32 v59, v157, v11                               // 00000000693C: 0A76179D
	v_mul_f32_e32 v60, v157, v12                               // 000000006940: 0A78199D
	v_mul_f32_e32 v61, v157, v13                               // 000000006944: 0A7A1B9D
	v_mul_f32_e32 v62, v157, v14                               // 000000006948: 0A7C1D9D
	v_mul_f32_e32 v63, v157, v15                               // 00000000694C: 0A7E1F9D
	v_mul_f32_e32 v64, v157, v16                               // 000000006950: 0A80219D
	v_mul_f32_e32 v65, v157, v17                               // 000000006954: 0A82239D
	v_mul_f32_e32 v66, v157, v18                               // 000000006958: 0A84259D
	v_mul_f32_e32 v67, v157, v19                               // 00000000695C: 0A86279D
	v_mul_f32_e32 v68, v157, v20                               // 000000006960: 0A88299D
	v_mul_f32_e32 v69, v157, v21                               // 000000006964: 0A8A2B9D
	v_mul_f32_e32 v70, v157, v22                               // 000000006968: 0A8C2D9D
	v_mul_f32_e32 v71, v157, v23                               // 00000000696C: 0A8E2F9D
	v_mul_f32_e32 v72, v157, v24                               // 000000006970: 0A90319D
	v_mul_f32_e32 v73, v157, v25                               // 000000006974: 0A92339D
	v_mul_f32_e32 v74, v157, v26                               // 000000006978: 0A94359D
	v_mul_f32_e32 v75, v157, v27                               // 00000000697C: 0A96379D
	v_mul_f32_e32 v76, v157, v28                               // 000000006980: 0A98399D
	v_mul_f32_e32 v77, v157, v29                               // 000000006984: 0A9A3B9D
	v_mul_f32_e32 v78, v157, v30                               // 000000006988: 0A9C3D9D
	v_mul_f32_e32 v79, v157, v31                               // 00000000698C: 0A9E3F9D
	v_mul_f32_e32 v80, v157, v32                               // 000000006990: 0AA0419D
	v_mul_f32_e32 v81, v157, v33                               // 000000006994: 0AA2439D
	v_mul_f32_e32 v82, v157, v34                               // 000000006998: 0AA4459D
	v_mul_f32_e32 v83, v157, v35                               // 00000000699C: 0AA6479D
	v_mul_f32_e32 v84, v157, v36                               // 0000000069A0: 0AA8499D
	v_mul_f32_e32 v85, v157, v37                               // 0000000069A4: 0AAA4B9D
	v_mul_f32_e32 v86, v157, v38                               // 0000000069A8: 0AAC4D9D
	v_mul_f32_e32 v87, v157, v39                               // 0000000069AC: 0AAE4F9D
	v_mul_f32_e32 v88, v157, v40                               // 0000000069B0: 0AB0519D
	v_mul_f32_e32 v89, v157, v41                               // 0000000069B4: 0AB2539D
	v_mul_f32_e32 v90, v157, v42                               // 0000000069B8: 0AB4559D
	v_mul_f32_e32 v91, v157, v43                               // 0000000069BC: 0AB6579D
	buffer_load_dword v154, v238, s[20:23], 0 offen            // 0000000069C0: E0501000 80059AEE
	v_sub_f32_e32 v200, v194, v197                             // 0000000069C8: 05918BC2
	v_cmp_eq_u32_e64 s[98:99], v225, v194                      // 0000000069CC: D0CA0062 000385E1
	v_cndmask_b32_e64 v200, v200, 0, s[98:99]                  // 0000000069D4: D10000C8 018901C8
	v_mov_b32_e32 v194, v197                                   // 0000000069DC: 7F8403C5
	v_mul_f32_e32 v200, s46, v200                              // 0000000069E0: 0B91902E
	v_exp_f32_e32 v200, v200                                   // 0000000069E4: 7F9041C8
	v_sub_f32_e32 v202, v195, v198                             // 0000000069E8: 05958DC3
	v_cmp_eq_u32_e64 s[98:99], v225, v195                      // 0000000069EC: D0CA0062 000387E1
	v_cndmask_b32_e64 v202, v202, 0, s[98:99]                  // 0000000069F4: D10000CA 018901CA
	v_mov_b32_e32 v195, v198                                   // 0000000069FC: 7F8603C6
	v_mul_f32_e32 v202, s46, v202                              // 000000006A00: 0B95942E
	v_exp_f32_e32 v202, v202                                   // 000000006A04: 7F9441CA
	v_sub_f32_e32 v204, v196, v199                             // 000000006A08: 05998FC4
	v_cmp_eq_u32_e64 s[98:99], v225, v196                      // 000000006A0C: D0CA0062 000389E1
	v_cndmask_b32_e64 v204, v204, 0, s[98:99]                  // 000000006A14: D10000CC 018901CC
	v_mov_b32_e32 v196, v199                                   // 000000006A1C: 7F8803C7
	v_mul_f32_e32 v204, s46, v204                              // 000000006A20: 0B99982E
	v_exp_f32_e32 v204, v204                                   // 000000006A24: 7F9841CC
	v_mov_b32_e32 v201, v200                                   // 000000006A28: 7F9203C8
	v_mov_b32_e32 v203, v202                                   // 000000006A2C: 7F9603CA
	v_mov_b32_e32 v205, v204                                   // 000000006A30: 7F9A03CC
	s_waitcnt lgkmcnt(0)                                       // 000000006A34: BF8CC07F
	s_barrier                                                  // 000000006A38: BF8A0000
	buffer_load_dword v156, v239, s[24:27], 0 offen            // 000000006A3C: E0501000 80069CEF
	v_mul_f32_e32 v206, v200, v206                             // 000000006A44: 0B9D9DC8
	v_mov_b32_e32 v207, 0                                      // 000000006A48: 7F9E0280
	v_pk_add_f32 v[206:207], v[4:5], v[206:207]                // 000000006A4C: D3B240CE 18039D04
	v_pk_add_f32 v[206:207], v[6:7], v[206:207]                // 000000006A54: D3B240CE 18039D06
	v_pk_add_f32 v[206:207], v[8:9], v[206:207]                // 000000006A5C: D3B240CE 18039D08
	v_pk_add_f32 v[206:207], v[10:11], v[206:207]              // 000000006A64: D3B240CE 18039D0A
	v_pk_add_f32 v[206:207], v[12:13], v[206:207]              // 000000006A6C: D3B240CE 18039D0C
	v_pk_add_f32 v[206:207], v[14:15], v[206:207]              // 000000006A74: D3B240CE 18039D0E
	v_pk_add_f32 v[206:207], v[16:17], v[206:207]              // 000000006A7C: D3B240CE 18039D10
	v_pk_add_f32 v[206:207], v[18:19], v[206:207]              // 000000006A84: D3B240CE 18039D12
	v_add_f32_e32 v206, v207, v206                             // 000000006A8C: 039D9DCF
	v_mul_f32_e32 v208, v202, v208                             // 000000006A90: 0BA1A1CA
	v_mov_b32_e32 v209, 0                                      // 000000006A94: 7FA20280
	v_pk_add_f32 v[208:209], v[20:21], v[208:209]              // 000000006A98: D3B240D0 1803A114
	v_pk_add_f32 v[208:209], v[22:23], v[208:209]              // 000000006AA0: D3B240D0 1803A116
	v_pk_add_f32 v[208:209], v[24:25], v[208:209]              // 000000006AA8: D3B240D0 1803A118
	v_pk_add_f32 v[208:209], v[26:27], v[208:209]              // 000000006AB0: D3B240D0 1803A11A
	v_pk_add_f32 v[208:209], v[28:29], v[208:209]              // 000000006AB8: D3B240D0 1803A11C
	v_pk_add_f32 v[208:209], v[30:31], v[208:209]              // 000000006AC0: D3B240D0 1803A11E
	v_pk_add_f32 v[208:209], v[32:33], v[208:209]              // 000000006AC8: D3B240D0 1803A120
	v_pk_add_f32 v[208:209], v[34:35], v[208:209]              // 000000006AD0: D3B240D0 1803A122
	v_add_f32_e32 v208, v209, v208                             // 000000006AD8: 03A1A1D1
	v_mul_f32_e32 v210, v204, v210                             // 000000006ADC: 0BA5A5CC
	v_mov_b32_e32 v211, 0                                      // 000000006AE0: 7FA60280
	v_pk_add_f32 v[210:211], v[36:37], v[210:211]              // 000000006AE4: D3B240D2 1803A524
	v_pk_add_f32 v[210:211], v[38:39], v[210:211]              // 000000006AEC: D3B240D2 1803A526
	v_pk_add_f32 v[210:211], v[40:41], v[210:211]              // 000000006AF4: D3B240D2 1803A528
	v_pk_add_f32 v[210:211], v[42:43], v[210:211]              // 000000006AFC: D3B240D2 1803A52A
	v_add_f32_e32 v210, v211, v210                             // 000000006B04: 03A5A5D3
	s_waitcnt lgkmcnt(0)                                       // 000000006B08: BF8CC07F
	v_sub_f32_e32 v188, v188, v194                             // 000000006B0C: 057985BC
	v_sub_f32_e32 v189, v189, v195                             // 000000006B10: 057B87BD
	v_sub_f32_e32 v190, v190, v196                             // 000000006B14: 057D89BE
	v_mul_f32_e32 v188, s46, v188                              // 000000006B18: 0B79782E
	v_mul_f32_e32 v189, s46, v189                              // 000000006B1C: 0B7B7A2E
	v_mul_f32_e32 v190, s46, v190                              // 000000006B20: 0B7D7C2E
	v_exp_f32_e32 v188, v188                                   // 000000006B24: 7F7841BC
	v_exp_f32_e32 v189, v189                                   // 000000006B28: 7F7A41BD
	v_exp_f32_e32 v190, v190                                   // 000000006B2C: 7F7C41BE
	v_mul_f32_e32 v188, v157, v188                             // 000000006B30: 0B79799D
	v_mul_f32_e32 v189, v157, v189                             // 000000006B34: 0B7B7B9D
	v_mul_f32_e32 v190, v157, v190                             // 000000006B38: 0B7D7D9D
	v_add_f32_e32 v188, 0x3089705f, v188                       // 000000006B3C: 037978FF 3089705F
	v_add_f32_e32 v189, 0x3089705f, v189                       // 000000006B44: 037B7AFF 3089705F
	v_add_f32_e32 v190, 0x3089705f, v190                       // 000000006B4C: 037D7CFF 3089705F
	v_rcp_f32_e32 v188, v188                                   // 000000006B54: 7F7845BC
	v_rcp_f32_e32 v189, v189                                   // 000000006B58: 7F7A45BD
	v_rcp_f32_e32 v190, v190                                   // 000000006B5C: 7F7C45BE
	v_mul_f32_e32 v188, 0x43700000, v188                       // 000000006B60: 0B7978FF 43700000
	v_mul_f32_e32 v189, 0x43700000, v189                       // 000000006B68: 0B7B7AFF 43700000
	v_mul_f32_e32 v190, 0x43700000, v190                       // 000000006B70: 0B7D7CFF 43700000
	v_mov_b32_e32 v192, v190                                   // 000000006B78: 7F8003BE
	v_mov_b32_e32 v193, v190                                   // 000000006B7C: 7F8203BE
	v_mov_b32_e32 v190, v189                                   // 000000006B80: 7F7C03BD
	v_mov_b32_e32 v191, v189                                   // 000000006B84: 7F7E03BD
	v_mov_b32_e32 v189, v188                                   // 000000006B88: 7F7A03BC
	v_pk_mul_f32 v[4:5], v[188:189], v[52:53]                  // 000000006B8C: D3B14004 180269BC
	v_pk_mul_f32 v[6:7], v[188:189], v[54:55]                  // 000000006B94: D3B14006 18026DBC
	v_pk_mul_f32 v[8:9], v[188:189], v[56:57]                  // 000000006B9C: D3B14008 180271BC
	v_pk_mul_f32 v[10:11], v[188:189], v[58:59]                // 000000006BA4: D3B1400A 180275BC
	v_pk_mul_f32 v[12:13], v[188:189], v[60:61]                // 000000006BAC: D3B1400C 180279BC
	v_pk_mul_f32 v[14:15], v[188:189], v[62:63]                // 000000006BB4: D3B1400E 18027DBC
	v_pk_mul_f32 v[16:17], v[188:189], v[64:65]                // 000000006BBC: D3B14010 180281BC
	v_pk_mul_f32 v[18:19], v[188:189], v[66:67]                // 000000006BC4: D3B14012 180285BC
	v_pk_mul_f32 v[20:21], v[190:191], v[68:69]                // 000000006BCC: D3B14014 180289BE
	v_pk_mul_f32 v[22:23], v[190:191], v[70:71]                // 000000006BD4: D3B14016 18028DBE
	v_pk_mul_f32 v[24:25], v[190:191], v[72:73]                // 000000006BDC: D3B14018 180291BE
	v_pk_mul_f32 v[26:27], v[190:191], v[74:75]                // 000000006BE4: D3B1401A 180295BE
	v_pk_mul_f32 v[28:29], v[190:191], v[76:77]                // 000000006BEC: D3B1401C 180299BE
	v_pk_mul_f32 v[30:31], v[190:191], v[78:79]                // 000000006BF4: D3B1401E 18029DBE
	v_pk_mul_f32 v[32:33], v[190:191], v[80:81]                // 000000006BFC: D3B14020 1802A1BE
	v_pk_mul_f32 v[34:35], v[190:191], v[82:83]                // 000000006C04: D3B14022 1802A5BE
	v_pk_mul_f32 v[36:37], v[192:193], v[84:85]                // 000000006C0C: D3B14024 1802A9C0
	v_pk_mul_f32 v[38:39], v[192:193], v[86:87]                // 000000006C14: D3B14026 1802ADC0
	v_pk_mul_f32 v[40:41], v[192:193], v[88:89]                // 000000006C1C: D3B14028 1802B1C0
	v_pk_mul_f32 v[42:43], v[192:193], v[90:91]                // 000000006C24: D3B1402A 1802B5C0
	v_cvt_pk_fp8_f32 v4, v4, v5                                // 000000006C2C: D2A20004 00020B04
	v_cvt_pk_fp8_f32 v4, v6, v7 op_sel:[0,0,1]                 // 000000006C34: D2A24004 00020F06
	v_cvt_pk_fp8_f32 v5, v8, v9                                // 000000006C3C: D2A20005 00021308
	v_cvt_pk_fp8_f32 v5, v10, v11 op_sel:[0,0,1]               // 000000006C44: D2A24005 0002170A
	v_cvt_pk_fp8_f32 v6, v12, v13                              // 000000006C4C: D2A20006 00021B0C
	v_cvt_pk_fp8_f32 v6, v14, v15 op_sel:[0,0,1]               // 000000006C54: D2A24006 00021F0E
	v_cvt_pk_fp8_f32 v7, v16, v17                              // 000000006C5C: D2A20007 00022310
	v_cvt_pk_fp8_f32 v7, v18, v19 op_sel:[0,0,1]               // 000000006C64: D2A24007 00022712
	v_cvt_pk_fp8_f32 v8, v20, v21                              // 000000006C6C: D2A20008 00022B14
	v_cvt_pk_fp8_f32 v8, v22, v23 op_sel:[0,0,1]               // 000000006C74: D2A24008 00022F16
	v_cvt_pk_fp8_f32 v9, v24, v25                              // 000000006C7C: D2A20009 00023318
	v_cvt_pk_fp8_f32 v9, v26, v27 op_sel:[0,0,1]               // 000000006C84: D2A24009 0002371A
	v_cvt_pk_fp8_f32 v10, v28, v29                             // 000000006C8C: D2A2000A 00023B1C
	v_cvt_pk_fp8_f32 v10, v30, v31 op_sel:[0,0,1]              // 000000006C94: D2A2400A 00023F1E
	v_cvt_pk_fp8_f32 v11, v32, v33                             // 000000006C9C: D2A2000B 00024320
	v_cvt_pk_fp8_f32 v11, v34, v35 op_sel:[0,0,1]              // 000000006CA4: D2A2400B 00024722
	v_cvt_pk_fp8_f32 v12, v36, v37                             // 000000006CAC: D2A2000C 00024B24
	v_cvt_pk_fp8_f32 v12, v38, v39 op_sel:[0,0,1]              // 000000006CB4: D2A2400C 00024F26
	v_cvt_pk_fp8_f32 v13, v40, v41                             // 000000006CBC: D2A2000D 00025328
	v_cvt_pk_fp8_f32 v13, v42, v43 op_sel:[0,0,1]              // 000000006CC4: D2A2400D 0002572A
	v_mov_b32_dpp v14, v12 row_shl:8 row_mask:0xf bank_mask:0xf bound_ctrl:1// 000000006CCC: 7E1C02FA FF09080C
	v_and_b32_e32 v12, v12, v224                               // 000000006CD4: 2619C10C
	v_mov_b32_dpp v15, v13 row_shl:8 row_mask:0xf bank_mask:0xf bound_ctrl:1// 000000006CD8: 7E1E02FA FF09080D
	v_and_b32_e32 v13, v13, v224                               // 000000006CE0: 261BC10D
	ds_write_b32 v254, v4 offset:8192                          // 000000006CE4: D81A2000 000004FE
	ds_write_b32 v254, v5 offset:9216                          // 000000006CEC: D81A2400 000005FE
	ds_write_b32 v254, v6 offset:10240                         // 000000006CF4: D81A2800 000006FE
	ds_write_b32 v254, v7 offset:11264                         // 000000006CFC: D81A2C00 000007FE
	ds_write_b32 v254, v8 offset:12288                         // 000000006D04: D81A3000 000008FE
	ds_write_b32 v254, v9 offset:13312                         // 000000006D0C: D81A3400 000009FE
	ds_write_b32 v254, v10 offset:14336                        // 000000006D14: D81A3800 00000AFE
	ds_write_b32 v254, v11 offset:15360                        // 000000006D1C: D81A3C00 00000BFE
	ds_write_b32 v254, v12 offset:16384                        // 000000006D24: D81A4000 00000CFE
	ds_write_b32 v254, v13 offset:17408                        // 000000006D2C: D81A4400 00000DFE
	ds_write_b32 v254, v14 offset:18432                        // 000000006D34: D81A4800 00000EFE
	ds_write_b32 v254, v15 offset:19456                        // 000000006D3C: D81A4C00 00000FFE
	v_rcp_f32_e32 v158, v188                                   // 000000006D44: 7F3C45BC
	v_rcp_f32_e32 v160, v190                                   // 000000006D48: 7F4045BE
	v_rcp_f32_e32 v162, v192                                   // 000000006D4C: 7F4445C0
	v_mov_b32_e32 v159, v158                                   // 000000006D50: 7F3E039E
	v_mov_b32_e32 v161, v160                                   // 000000006D54: 7F4203A0
	v_mov_b32_e32 v163, v162                                   // 000000006D58: 7F4603A2
	v_pk_add_f32 v[124:125], v[124:125], v[100:101]            // 000000006D5C: D3B2407C 1802C97C
	v_pk_add_f32 v[126:127], v[126:127], v[102:103]            // 000000006D64: D3B2407E 1802CD7E
	v_pk_add_f32 v[128:129], v[128:129], v[104:105]            // 000000006D6C: D3B24080 1802D180
	v_pk_add_f32 v[130:131], v[130:131], v[106:107]            // 000000006D74: D3B24082 1802D582
	v_pk_add_f32 v[132:133], v[132:133], v[108:109]            // 000000006D7C: D3B24084 1802D984
	v_pk_add_f32 v[134:135], v[134:135], v[110:111]            // 000000006D84: D3B24086 1802DD86
	v_pk_add_f32 v[136:137], v[136:137], v[112:113]            // 000000006D8C: D3B24088 1802E188
	v_pk_add_f32 v[138:139], v[138:139], v[114:115]            // 000000006D94: D3B2408A 1802E58A
	v_pk_add_f32 v[140:141], v[140:141], v[116:117]            // 000000006D9C: D3B2408C 1802E98C
	v_pk_add_f32 v[142:143], v[142:143], v[118:119]            // 000000006DA4: D3B2408E 1802ED8E
	v_pk_add_f32 v[144:145], v[144:145], v[120:121]            // 000000006DAC: D3B24090 1802F190
	v_pk_add_f32 v[146:147], v[146:147], v[122:123]            // 000000006DB4: D3B24092 1802F592
	s_waitcnt lgkmcnt(0)                                       // 000000006DBC: BF8CC07F
	s_barrier                                                  // 000000006DC0: BF8A0000
	ds_read_b128 v[4:7], v255 offset:8192                      // 000000006DC4: D9FE2000 040000FF
	ds_read_b128 v[8:11], v255 offset:9216                     // 000000006DCC: D9FE2400 080000FF
	ds_read_b128 v[12:15], v255 offset:10240                   // 000000006DD4: D9FE2800 0C0000FF
	ds_read_b128 v[16:19], v255 offset:11264                   // 000000006DDC: D9FE2C00 100000FF
	ds_read_b128 v[20:23], v255 offset:12288                   // 000000006DE4: D9FE3000 140000FF
	ds_read_b128 v[24:27], v255 offset:13312                   // 000000006DEC: D9FE3400 180000FF
	ds_read_b128 v[28:31], v255 offset:14336                   // 000000006DF4: D9FE3800 1C0000FF
	ds_read_b128 v[32:35], v255 offset:15360                   // 000000006DFC: D9FE3C00 200000FF
	ds_read_b128 v[36:39], v255 offset:16384                   // 000000006E04: D9FE4000 240000FF
	ds_read_b128 v[40:43], v255 offset:17408                   // 000000006E0C: D9FE4400 280000FF
	ds_read_b128 v[44:47], v255 offset:18432                   // 000000006E14: D9FE4800 2C0000FF
	ds_read_b128 v[48:51], v255 offset:19456                   // 000000006E1C: D9FE4C00 300000FF
	s_waitcnt vmcnt(10)                                        // 000000006E24: BF8C0F7A
	s_waitcnt lgkmcnt(11)                                      // 000000006E28: BF8CCB7F
	v_mfma_f32_16x16x32_fp8_fp8 v[100:103], a[120:121], v[4:5], 0// 000000006E2C: D3F30064 0A020978
	v_mfma_f32_16x16x32_fp8_fp8 v[104:107], a[136:137], v[4:5], 0// 000000006E34: D3F30068 0A020988
	v_mfma_f32_16x16x32_fp8_fp8 v[100:103], a[122:123], v[6:7], v[100:103]// 000000006E3C: D3F30064 0D920D7A
	buffer_load_dwordx4 a[88:91], v234, s[16:19], 0 offen      // 000000006E44: E05C1000 808458EA
	v_mfma_f32_16x16x32_fp8_fp8 v[104:107], a[138:139], v[6:7], v[104:107]// 000000006E4C: D3F30068 0DA20D8A
	s_waitcnt lgkmcnt(10)                                      // 000000006E54: BF8CCA7F
	v_mfma_f32_16x16x32_fp8_fp8 v[100:103], a[124:125], v[8:9], v[100:103]// 000000006E58: D3F30064 0D92117C
	v_mfma_f32_16x16x32_fp8_fp8 v[104:107], a[140:141], v[8:9], v[104:107]// 000000006E60: D3F30068 0DA2118C
	v_mfma_f32_16x16x32_fp8_fp8 v[100:103], a[126:127], v[10:11], v[100:103]// 000000006E68: D3F30064 0D92157E
	buffer_load_dwordx4 a[92:95], v235, s[16:19], 0 offen      // 000000006E70: E05C1000 80845CEB
	v_mfma_f32_16x16x32_fp8_fp8 v[104:107], a[142:143], v[10:11], v[104:107]// 000000006E78: D3F30068 0DA2158E
	s_waitcnt lgkmcnt(9)                                       // 000000006E80: BF8CC97F
	v_mfma_f32_16x16x32_fp8_fp8 v[100:103], a[128:129], v[12:13], v[100:103]// 000000006E84: D3F30064 0D921980
	v_mfma_f32_16x16x32_fp8_fp8 v[104:107], a[144:145], v[12:13], v[104:107]// 000000006E8C: D3F30068 0DA21990
	v_mfma_f32_16x16x32_fp8_fp8 v[100:103], a[130:131], v[14:15], v[100:103]// 000000006E94: D3F30064 0D921D82
	buffer_load_dwordx4 a[96:99], v236, s[16:19], 0 offen      // 000000006E9C: E05C1000 808460EC
	v_mfma_f32_16x16x32_fp8_fp8 v[104:107], a[146:147], v[14:15], v[104:107]// 000000006EA4: D3F30068 0DA21D92
	s_waitcnt lgkmcnt(8)                                       // 000000006EAC: BF8CC87F
	v_mfma_f32_16x16x32_fp8_fp8 v[100:103], a[132:133], v[16:17], v[100:103]// 000000006EB0: D3F30064 0D922184
	v_mfma_f32_16x16x32_fp8_fp8 v[104:107], a[148:149], v[16:17], v[104:107]// 000000006EB8: D3F30068 0DA22194
	v_mfma_f32_16x16x32_fp8_fp8 v[100:103], a[134:135], v[18:19], v[100:103]// 000000006EC0: D3F30064 0D922586
	buffer_load_dwordx4 a[100:103], v237, s[16:19], 0 offen    // 000000006EC8: E05C1000 808464ED
	v_mfma_f32_16x16x32_fp8_fp8 v[104:107], a[150:151], v[18:19], v[104:107]// 000000006ED0: D3F30068 0DA22596
	s_waitcnt lgkmcnt(7)                                       // 000000006ED8: BF8CC77F
	v_mfma_f32_16x16x32_fp8_fp8 v[108:111], a[120:121], v[20:21], 0// 000000006EDC: D3F3006C 0A022978
	v_mfma_f32_16x16x32_fp8_fp8 v[112:115], a[136:137], v[20:21], 0// 000000006EE4: D3F30070 0A022988
	v_mfma_f32_16x16x32_fp8_fp8 v[108:111], a[122:123], v[22:23], v[108:111]// 000000006EEC: D3F3006C 0DB22D7A
	buffer_load_dwordx4 a[104:107], v234, s[16:19], 0 offen offset:1024// 000000006EF4: E05C1400 808468EA
	v_mfma_f32_16x16x32_fp8_fp8 v[112:115], a[138:139], v[22:23], v[112:115]// 000000006EFC: D3F30070 0DC22D8A
	s_waitcnt lgkmcnt(6)                                       // 000000006F04: BF8CC67F
	v_mfma_f32_16x16x32_fp8_fp8 v[108:111], a[124:125], v[24:25], v[108:111]// 000000006F08: D3F3006C 0DB2317C
	v_mfma_f32_16x16x32_fp8_fp8 v[112:115], a[140:141], v[24:25], v[112:115]// 000000006F10: D3F30070 0DC2318C
	v_mfma_f32_16x16x32_fp8_fp8 v[108:111], a[126:127], v[26:27], v[108:111]// 000000006F18: D3F3006C 0DB2357E
	buffer_load_dwordx4 a[108:111], v235, s[16:19], 0 offen offset:1024// 000000006F20: E05C1400 80846CEB
	v_mfma_f32_16x16x32_fp8_fp8 v[112:115], a[142:143], v[26:27], v[112:115]// 000000006F28: D3F30070 0DC2358E
	s_waitcnt lgkmcnt(5)                                       // 000000006F30: BF8CC57F
	v_mfma_f32_16x16x32_fp8_fp8 v[108:111], a[128:129], v[28:29], v[108:111]// 000000006F34: D3F3006C 0DB23980
	v_mfma_f32_16x16x32_fp8_fp8 v[112:115], a[144:145], v[28:29], v[112:115]// 000000006F3C: D3F30070 0DC23990
	v_mfma_f32_16x16x32_fp8_fp8 v[108:111], a[130:131], v[30:31], v[108:111]// 000000006F44: D3F3006C 0DB23D82
	buffer_load_dwordx4 a[112:115], v236, s[16:19], 0 offen offset:1024// 000000006F4C: E05C1400 808470EC
	v_mfma_f32_16x16x32_fp8_fp8 v[112:115], a[146:147], v[30:31], v[112:115]// 000000006F54: D3F30070 0DC23D92
	s_waitcnt lgkmcnt(4)                                       // 000000006F5C: BF8CC47F
	v_mfma_f32_16x16x32_fp8_fp8 v[108:111], a[132:133], v[32:33], v[108:111]// 000000006F60: D3F3006C 0DB24184
	v_mfma_f32_16x16x32_fp8_fp8 v[112:115], a[148:149], v[32:33], v[112:115]// 000000006F68: D3F30070 0DC24194
	v_mfma_f32_16x16x32_fp8_fp8 v[108:111], a[134:135], v[34:35], v[108:111]// 000000006F70: D3F3006C 0DB24586
	buffer_load_dwordx4 a[116:119], v237, s[16:19], 0 offen offset:1024// 000000006F78: E05C1400 808474ED
	v_mfma_f32_16x16x32_fp8_fp8 v[112:115], a[150:151], v[34:35], v[112:115]// 000000006F80: D3F30070 0DC24596
	s_waitcnt lgkmcnt(3)                                       // 000000006F88: BF8CC37F
	v_mfma_f32_16x16x32_fp8_fp8 v[116:119], a[120:121], v[36:37], 0// 000000006F8C: D3F30074 0A024978
	v_mfma_f32_16x16x32_fp8_fp8 v[120:123], a[136:137], v[36:37], 0// 000000006F94: D3F30078 0A024988
	v_mfma_f32_16x16x32_fp8_fp8 v[116:119], a[122:123], v[38:39], v[116:119]// 000000006F9C: D3F30074 0DD24D7A
	v_mfma_f32_16x16x32_fp8_fp8 v[120:123], a[138:139], v[38:39], v[120:123]// 000000006FA4: D3F30078 0DE24D8A
	s_waitcnt lgkmcnt(2)                                       // 000000006FAC: BF8CC27F
	v_mfma_f32_16x16x32_fp8_fp8 v[116:119], a[124:125], v[40:41], v[116:119]// 000000006FB0: D3F30074 0DD2517C
	v_mfma_f32_16x16x32_fp8_fp8 v[120:123], a[140:141], v[40:41], v[120:123]// 000000006FB8: D3F30078 0DE2518C
	v_mfma_f32_16x16x32_fp8_fp8 v[116:119], a[126:127], v[42:43], v[116:119]// 000000006FC0: D3F30074 0DD2557E
	v_mfma_f32_16x16x32_fp8_fp8 v[120:123], a[142:143], v[42:43], v[120:123]// 000000006FC8: D3F30078 0DE2558E
	s_waitcnt lgkmcnt(1)                                       // 000000006FD0: BF8CC17F
	v_mfma_f32_16x16x32_fp8_fp8 v[116:119], a[128:129], v[44:45], v[116:119]// 000000006FD4: D3F30074 0DD25980
	v_mfma_f32_16x16x32_fp8_fp8 v[120:123], a[144:145], v[44:45], v[120:123]// 000000006FDC: D3F30078 0DE25990
	v_mfma_f32_16x16x32_fp8_fp8 v[116:119], a[130:131], v[46:47], v[116:119]// 000000006FE4: D3F30074 0DD25D82
	v_mfma_f32_16x16x32_fp8_fp8 v[120:123], a[146:147], v[46:47], v[120:123]// 000000006FEC: D3F30078 0DE25D92
	s_waitcnt lgkmcnt(0)                                       // 000000006FF4: BF8CC07F
	v_mfma_f32_16x16x32_fp8_fp8 v[116:119], a[132:133], v[48:49], v[116:119]// 000000006FF8: D3F30074 0DD26184
	v_mfma_f32_16x16x32_fp8_fp8 v[120:123], a[148:149], v[48:49], v[120:123]// 000000007000: D3F30078 0DE26194
	v_mfma_f32_16x16x32_fp8_fp8 v[116:119], a[134:135], v[50:51], v[116:119]// 000000007008: D3F30074 0DD26586
	v_mfma_f32_16x16x32_fp8_fp8 v[120:123], a[150:151], v[50:51], v[120:123]// 000000007010: D3F30078 0DE26596
	s_addk_i32 s64, 0x100                                      // 000000007018: B7400100
	s_branch label_0B54                                        // 00000000701C: BF82F8CC

0000000000007020 <label_1288>:
	s_cmp_lt_i32 s64, s62                                      // 000000007020: BF043E40
	s_cbranch_scc0 label_200A                                  // 000000007024: BF840D80
	s_waitcnt vmcnt(10)                                        // 000000007028: BF8C0F7A
	s_lshl_b32 s68, s76, 2                                     // 00000000702C: 8E44824C
	s_cmp_lt_u32 s76, s77                                      // 000000007030: BF0A4D4C
	s_cselect_b32 s68, s68, 0                                  // 000000007034: 85448044
	s_addk_i32 s76, 0x1                                        // 000000007038: B74C0001
	s_load_dword s59, s[42:43], s68                            // 00000000703C: C0000ED5 00000044
	s_waitcnt lgkmcnt(0)                                       // 000000007044: BF8CC07F
	s_mul_i32 s69, s59, s50                                    // 000000007048: 9245323B
	s_mul_i32 s71, s59, s66                                    // 00000000704C: 9247423B
	s_mul_i32 s54, s78, s51                                    // 000000007050: 9236334E
	s_add_u32 s69, s69, s54                                    // 000000007054: 80453645
	s_mov_b32 s70, s69                                         // 000000007058: BEC60045
	s_mul_i32 s54, s78, 4                                      // 00000000705C: 9236844E
	s_add_u32 s71, s71, s54                                    // 000000007060: 80473647
	s_add_u32 s12, s86, s69                                    // 000000007064: 800C4556
	s_addc_u32 s13, s87, 0                                     // 000000007068: 820D8057
	s_add_u32 s16, s88, s70                                    // 00000000706C: 80104658
	s_addc_u32 s17, s89, 0                                     // 000000007070: 82118059
	s_add_u32 s20, s90, s71                                    // 000000007074: 8014475A
	s_addc_u32 s21, s91, 0                                     // 000000007078: 8215805B
	s_add_u32 s24, s92, s71                                    // 00000000707C: 8018475C
	s_addc_u32 s25, s93, 0                                     // 000000007080: 8219805D
	v_mfma_f32_16x16x32_fp8_fp8 v[4:7], a[24:25], a[0:1], 0    // 000000007084: D3F30004 1A020118
	v_mfma_f32_16x16x32_fp8_fp8 v[4:7], a[26:27], a[2:3], v[4:7]// 00000000708C: D3F30004 1C12051A
	v_mfma_f32_16x16x32_fp8_fp8 v[4:7], a[28:29], a[4:5], v[4:7]// 000000007094: D3F30004 1C12091C
	buffer_load_dwordx4 a[56:59], v232, s[12:15], 0 offen      // 00000000709C: E05C1000 808338E8
	v_mfma_f32_16x16x32_fp8_fp8 v[4:7], a[30:31], a[6:7], v[4:7]// 0000000070A4: D3F30004 1C120D1E
	v_mfma_f32_16x16x32_fp8_fp8 v[8:11], a[32:33], a[0:1], 0   // 0000000070AC: D3F30008 1A020120
	v_mfma_f32_16x16x32_fp8_fp8 v[8:11], a[34:35], a[2:3], v[8:11]// 0000000070B4: D3F30008 1C220522
	v_mfma_f32_16x16x32_fp8_fp8 v[8:11], a[36:37], a[4:5], v[8:11]// 0000000070BC: D3F30008 1C220924
	buffer_load_dwordx4 a[60:63], v233, s[12:15], 0 offen      // 0000000070C4: E05C1000 80833CE9
	v_mfma_f32_16x16x32_fp8_fp8 v[8:11], a[38:39], a[6:7], v[8:11]// 0000000070CC: D3F30008 1C220D26
	v_mfma_f32_16x16x32_fp8_fp8 v[12:15], a[40:41], a[0:1], 0  // 0000000070D4: D3F3000C 1A020128
	v_mfma_f32_16x16x32_fp8_fp8 v[12:15], a[42:43], a[2:3], v[12:15]// 0000000070DC: D3F3000C 1C32052A
	v_mfma_f32_16x16x32_fp8_fp8 v[12:15], a[44:45], a[4:5], v[12:15]// 0000000070E4: D3F3000C 1C32092C
	buffer_load_dwordx4 a[64:67], v232, s[12:15], 0 offen offset:1024// 0000000070EC: E05C1400 808340E8
	v_mfma_f32_16x16x32_fp8_fp8 v[12:15], a[46:47], a[6:7], v[12:15]// 0000000070F4: D3F3000C 1C320D2E
	v_mfma_f32_16x16x32_fp8_fp8 v[16:19], a[48:49], a[0:1], 0  // 0000000070FC: D3F30010 1A020130
	v_mfma_f32_16x16x32_fp8_fp8 v[16:19], a[50:51], a[2:3], v[16:19]// 000000007104: D3F30010 1C420532
	v_mfma_f32_16x16x32_fp8_fp8 v[16:19], a[52:53], a[4:5], v[16:19]// 00000000710C: D3F30010 1C420934
	buffer_load_dwordx4 a[68:71], v233, s[12:15], 0 offen offset:1024// 000000007114: E05C1400 808344E9
	v_mfma_f32_16x16x32_fp8_fp8 v[16:19], a[54:55], a[6:7], v[16:19]// 00000000711C: D3F30010 1C420D36
	v_mfma_f32_16x16x32_fp8_fp8 v[20:23], a[24:25], a[8:9], 0  // 000000007124: D3F30014 1A021118
	v_mfma_f32_16x16x32_fp8_fp8 v[20:23], a[26:27], a[10:11], v[20:23]// 00000000712C: D3F30014 1C52151A
	v_mfma_f32_16x16x32_fp8_fp8 v[20:23], a[28:29], a[12:13], v[20:23]// 000000007134: D3F30014 1C52191C
	buffer_load_dwordx4 a[72:75], v232, s[12:15], 0 offen offset:2048// 00000000713C: E05C1800 808348E8
	v_mfma_f32_16x16x32_fp8_fp8 v[20:23], a[30:31], a[14:15], v[20:23]// 000000007144: D3F30014 1C521D1E
	v_mfma_f32_16x16x32_fp8_fp8 v[24:27], a[32:33], a[8:9], 0  // 00000000714C: D3F30018 1A021120
	v_mfma_f32_16x16x32_fp8_fp8 v[24:27], a[34:35], a[10:11], v[24:27]// 000000007154: D3F30018 1C621522
	v_mfma_f32_16x16x32_fp8_fp8 v[24:27], a[36:37], a[12:13], v[24:27]// 00000000715C: D3F30018 1C621924
	buffer_load_dwordx4 a[76:79], v233, s[12:15], 0 offen offset:2048// 000000007164: E05C1800 80834CE9
	v_mfma_f32_16x16x32_fp8_fp8 v[24:27], a[38:39], a[14:15], v[24:27]// 00000000716C: D3F30018 1C621D26
	v_mfma_f32_16x16x32_fp8_fp8 v[28:31], a[40:41], a[8:9], 0  // 000000007174: D3F3001C 1A021128
	v_mfma_f32_16x16x32_fp8_fp8 v[28:31], a[42:43], a[10:11], v[28:31]// 00000000717C: D3F3001C 1C72152A
	v_mfma_f32_16x16x32_fp8_fp8 v[28:31], a[44:45], a[12:13], v[28:31]// 000000007184: D3F3001C 1C72192C
	buffer_load_dwordx4 a[80:83], v232, s[12:15], 0 offen offset:3072// 00000000718C: E05C1C00 808350E8
	v_mfma_f32_16x16x32_fp8_fp8 v[28:31], a[46:47], a[14:15], v[28:31]// 000000007194: D3F3001C 1C721D2E
	v_mfma_f32_16x16x32_fp8_fp8 v[32:35], a[48:49], a[8:9], 0  // 00000000719C: D3F30020 1A021130
	v_mfma_f32_16x16x32_fp8_fp8 v[32:35], a[50:51], a[10:11], v[32:35]// 0000000071A4: D3F30020 1C821532
	v_mfma_f32_16x16x32_fp8_fp8 v[32:35], a[52:53], a[12:13], v[32:35]// 0000000071AC: D3F30020 1C821934
	buffer_load_dwordx4 a[84:87], v233, s[12:15], 0 offen offset:3072// 0000000071B4: E05C1C00 808354E9
	v_mfma_f32_16x16x32_fp8_fp8 v[32:35], a[54:55], a[14:15], v[32:35]// 0000000071BC: D3F30020 1C821D36
	v_mfma_f32_16x16x32_fp8_fp8 v[36:39], a[24:25], a[16:17], 0// 0000000071C4: D3F30024 1A022118
	v_mfma_f32_16x16x32_fp8_fp8 v[36:39], a[26:27], a[18:19], v[36:39]// 0000000071CC: D3F30024 1C92251A
	v_mfma_f32_16x16x32_fp8_fp8 v[36:39], a[28:29], a[20:21], v[36:39]// 0000000071D4: D3F30024 1C92291C
	v_mfma_f32_16x16x32_fp8_fp8 v[36:39], a[30:31], a[22:23], v[36:39]// 0000000071DC: D3F30024 1C922D1E
	v_mfma_f32_16x16x32_fp8_fp8 v[40:43], a[32:33], a[16:17], 0// 0000000071E4: D3F30028 1A022120
	v_mfma_f32_16x16x32_fp8_fp8 v[40:43], a[34:35], a[18:19], v[40:43]// 0000000071EC: D3F30028 1CA22522
	v_mfma_f32_16x16x32_fp8_fp8 v[40:43], a[36:37], a[20:21], v[40:43]// 0000000071F4: D3F30028 1CA22924
	v_mfma_f32_16x16x32_fp8_fp8 v[40:43], a[38:39], a[22:23], v[40:43]// 0000000071FC: D3F30028 1CA22D26
	v_mfma_f32_16x16x32_fp8_fp8 v[44:47], a[40:41], a[16:17], 0// 000000007204: D3F3002C 1A022128
	v_mfma_f32_16x16x32_fp8_fp8 v[44:47], a[42:43], a[18:19], v[44:47]// 00000000720C: D3F3002C 1CB2252A
	v_mfma_f32_16x16x32_fp8_fp8 v[44:47], a[44:45], a[20:21], v[44:47]// 000000007214: D3F3002C 1CB2292C
	v_mfma_f32_16x16x32_fp8_fp8 v[44:47], a[46:47], a[22:23], v[44:47]// 00000000721C: D3F3002C 1CB22D2E
	v_mfma_f32_16x16x32_fp8_fp8 v[48:51], a[48:49], a[16:17], 0// 000000007224: D3F30030 1A022130
	v_mfma_f32_16x16x32_fp8_fp8 v[48:51], a[50:51], a[18:19], v[48:51]// 00000000722C: D3F30030 1CC22532
	v_mfma_f32_16x16x32_fp8_fp8 v[48:51], a[52:53], a[20:21], v[48:51]// 000000007234: D3F30030 1CC22934
	v_mfma_f32_16x16x32_fp8_fp8 v[48:51], a[54:55], a[22:23], v[48:51]// 00000000723C: D3F30030 1CC22D36
	s_waitcnt vmcnt(16)                                        // 000000007244: BF8C4F70
	v_or_b32_dpp v36, v44, v36 row_shr:8 row_mask:0xf bank_mask:0xf bound_ctrl:1// 000000007248: 284848FA FF09182C
	v_or_b32_dpp v37, v45, v37 row_shr:8 row_mask:0xf bank_mask:0xf bound_ctrl:1// 000000007250: 284A4AFA FF09182D
	v_or_b32_dpp v38, v46, v38 row_shr:8 row_mask:0xf bank_mask:0xf bound_ctrl:1// 000000007258: 284C4CFA FF09182E
	v_or_b32_dpp v39, v47, v39 row_shr:8 row_mask:0xf bank_mask:0xf bound_ctrl:1// 000000007260: 284E4EFA FF09182F
	v_or_b32_dpp v40, v48, v40 row_shr:8 row_mask:0xf bank_mask:0xf bound_ctrl:1// 000000007268: 285050FA FF091830
	v_or_b32_dpp v41, v49, v41 row_shr:8 row_mask:0xf bank_mask:0xf bound_ctrl:1// 000000007270: 285252FA FF091831
	v_or_b32_dpp v42, v50, v42 row_shr:8 row_mask:0xf bank_mask:0xf bound_ctrl:1// 000000007278: 285454FA FF091832
	v_or_b32_dpp v43, v51, v43 row_shr:8 row_mask:0xf bank_mask:0xf bound_ctrl:1// 000000007280: 285656FA FF091833
	v_pk_mul_f32 v[4:5], v[148:149], v[4:5]                    // 000000007288: D3B14004 18020994
	v_pk_mul_f32 v[6:7], v[148:149], v[6:7]                    // 000000007290: D3B14006 18020D94
	v_pk_mul_f32 v[8:9], v[148:149], v[8:9]                    // 000000007298: D3B14008 18021194
	v_pk_mul_f32 v[10:11], v[148:149], v[10:11]                // 0000000072A0: D3B1400A 18021594
	v_pk_mul_f32 v[12:13], v[148:149], v[12:13]                // 0000000072A8: D3B1400C 18021994
	v_pk_mul_f32 v[14:15], v[148:149], v[14:15]                // 0000000072B0: D3B1400E 18021D94
	v_pk_mul_f32 v[16:17], v[148:149], v[16:17]                // 0000000072B8: D3B14010 18022194
	v_pk_mul_f32 v[18:19], v[148:149], v[18:19]                // 0000000072C0: D3B14012 18022594
	v_mul_f32_e32 v4, v154, v4                                 // 0000000072C8: 0A08099A
	v_mul_f32_e32 v5, v154, v5                                 // 0000000072CC: 0A0A0B9A
	v_mul_f32_e32 v6, v154, v6                                 // 0000000072D0: 0A0C0D9A
	v_mul_f32_e32 v7, v154, v7                                 // 0000000072D4: 0A0E0F9A
	v_mul_f32_e32 v8, v154, v8                                 // 0000000072D8: 0A10119A
	v_mul_f32_e32 v9, v154, v9                                 // 0000000072DC: 0A12139A
	v_mul_f32_e32 v10, v154, v10                               // 0000000072E0: 0A14159A
	v_mul_f32_e32 v11, v154, v11                               // 0000000072E4: 0A16179A
	v_mul_f32_e32 v12, v154, v12                               // 0000000072E8: 0A18199A
	v_mul_f32_e32 v13, v154, v13                               // 0000000072EC: 0A1A1B9A
	v_mul_f32_e32 v14, v154, v14                               // 0000000072F0: 0A1C1D9A
	v_mul_f32_e32 v15, v154, v15                               // 0000000072F4: 0A1E1F9A
	v_mul_f32_e32 v16, v154, v16                               // 0000000072F8: 0A20219A
	v_mul_f32_e32 v17, v154, v17                               // 0000000072FC: 0A22239A
	v_mul_f32_e32 v18, v154, v18                               // 000000007300: 0A24259A
	v_mul_f32_e32 v19, v154, v19                               // 000000007304: 0A26279A
	v_pk_mul_f32 v[20:21], v[150:151], v[20:21]                // 000000007308: D3B14014 18022996
	v_pk_mul_f32 v[22:23], v[150:151], v[22:23]                // 000000007310: D3B14016 18022D96
	v_pk_mul_f32 v[24:25], v[150:151], v[24:25]                // 000000007318: D3B14018 18023196
	v_pk_mul_f32 v[26:27], v[150:151], v[26:27]                // 000000007320: D3B1401A 18023596
	v_pk_mul_f32 v[28:29], v[150:151], v[28:29]                // 000000007328: D3B1401C 18023996
	v_pk_mul_f32 v[30:31], v[150:151], v[30:31]                // 000000007330: D3B1401E 18023D96
	v_pk_mul_f32 v[32:33], v[150:151], v[32:33]                // 000000007338: D3B14020 18024196
	v_pk_mul_f32 v[34:35], v[150:151], v[34:35]                // 000000007340: D3B14022 18024596
	v_mul_f32_e32 v20, v154, v20                               // 000000007348: 0A28299A
	v_mul_f32_e32 v21, v154, v21                               // 00000000734C: 0A2A2B9A
	v_mul_f32_e32 v22, v154, v22                               // 000000007350: 0A2C2D9A
	v_mul_f32_e32 v23, v154, v23                               // 000000007354: 0A2E2F9A
	v_mul_f32_e32 v24, v154, v24                               // 000000007358: 0A30319A
	v_mul_f32_e32 v25, v154, v25                               // 00000000735C: 0A32339A
	v_mul_f32_e32 v26, v154, v26                               // 000000007360: 0A34359A
	v_mul_f32_e32 v27, v154, v27                               // 000000007364: 0A36379A
	v_mul_f32_e32 v28, v154, v28                               // 000000007368: 0A38399A
	v_mul_f32_e32 v29, v154, v29                               // 00000000736C: 0A3A3B9A
	v_mul_f32_e32 v30, v154, v30                               // 000000007370: 0A3C3D9A
	v_mul_f32_e32 v31, v154, v31                               // 000000007374: 0A3E3F9A
	v_mul_f32_e32 v32, v154, v32                               // 000000007378: 0A40419A
	v_mul_f32_e32 v33, v154, v33                               // 00000000737C: 0A42439A
	v_mul_f32_e32 v34, v154, v34                               // 000000007380: 0A44459A
	v_mul_f32_e32 v35, v154, v35                               // 000000007384: 0A46479A
	v_pk_mul_f32 v[36:37], v[152:153], v[36:37]                // 000000007388: D3B14024 18024998
	v_pk_mul_f32 v[38:39], v[152:153], v[38:39]                // 000000007390: D3B14026 18024D98
	v_pk_mul_f32 v[40:41], v[152:153], v[40:41]                // 000000007398: D3B14028 18025198
	v_pk_mul_f32 v[42:43], v[152:153], v[42:43]                // 0000000073A0: D3B1402A 18025598
	v_mul_f32_e32 v36, v154, v36                               // 0000000073A8: 0A48499A
	v_mul_f32_e32 v37, v154, v37                               // 0000000073AC: 0A4A4B9A
	v_mul_f32_e32 v38, v154, v38                               // 0000000073B0: 0A4C4D9A
	v_mul_f32_e32 v39, v154, v39                               // 0000000073B4: 0A4E4F9A
	v_mul_f32_e32 v40, v154, v40                               // 0000000073B8: 0A50519A
	v_mul_f32_e32 v41, v154, v41                               // 0000000073BC: 0A52539A
	v_mul_f32_e32 v42, v154, v42                               // 0000000073C0: 0A54559A
	v_mul_f32_e32 v43, v154, v43                               // 0000000073C4: 0A56579A
	v_add_u32_e32 v168, s64, v222                              // 0000000073C8: 6951BC40
	v_add_u32_e32 v169, 0, v168                                // 0000000073CC: 69535080
	v_cmp_lt_u32_e64 s[98:99], v169, v219                      // 0000000073D0: D0C90062 0003B7A9
	s_nop 0                                                    // 0000000073D8: BF800000
	v_cndmask_b32_e64 v4, v225, v4, s[98:99]                   // 0000000073DC: D1000004 018A09E1
	v_add_u32_e32 v169, 1, v168                                // 0000000073E4: 69535081
	v_cmp_lt_u32_e64 s[98:99], v169, v219                      // 0000000073E8: D0C90062 0003B7A9
	s_nop 0                                                    // 0000000073F0: BF800000
	v_cndmask_b32_e64 v5, v225, v5, s[98:99]                   // 0000000073F4: D1000005 018A0BE1
	v_add_u32_e32 v169, 2, v168                                // 0000000073FC: 69535082
	v_cmp_lt_u32_e64 s[98:99], v169, v219                      // 000000007400: D0C90062 0003B7A9
	s_nop 0                                                    // 000000007408: BF800000
	v_cndmask_b32_e64 v6, v225, v6, s[98:99]                   // 00000000740C: D1000006 018A0DE1
	v_add_u32_e32 v169, 3, v168                                // 000000007414: 69535083
	v_cmp_lt_u32_e64 s[98:99], v169, v219                      // 000000007418: D0C90062 0003B7A9
	s_nop 0                                                    // 000000007420: BF800000
	v_cndmask_b32_e64 v7, v225, v7, s[98:99]                   // 000000007424: D1000007 018A0FE1
	v_add_u32_e32 v169, 64, v168                               // 00000000742C: 695350C0
	v_cmp_lt_u32_e64 s[98:99], v169, v219                      // 000000007430: D0C90062 0003B7A9
	s_nop 0                                                    // 000000007438: BF800000
	v_cndmask_b32_e64 v8, v225, v8, s[98:99]                   // 00000000743C: D1000008 018A11E1
	v_add_u32_e32 v169, 0x41, v168                             // 000000007444: 695350FF 00000041
	v_cmp_lt_u32_e64 s[98:99], v169, v219                      // 00000000744C: D0C90062 0003B7A9
	s_nop 0                                                    // 000000007454: BF800000
	v_cndmask_b32_e64 v9, v225, v9, s[98:99]                   // 000000007458: D1000009 018A13E1
	v_add_u32_e32 v169, 0x42, v168                             // 000000007460: 695350FF 00000042
	v_cmp_lt_u32_e64 s[98:99], v169, v219                      // 000000007468: D0C90062 0003B7A9
	s_nop 0                                                    // 000000007470: BF800000
	v_cndmask_b32_e64 v10, v225, v10, s[98:99]                 // 000000007474: D100000A 018A15E1
	v_add_u32_e32 v169, 0x43, v168                             // 00000000747C: 695350FF 00000043
	v_cmp_lt_u32_e64 s[98:99], v169, v219                      // 000000007484: D0C90062 0003B7A9
	s_nop 0                                                    // 00000000748C: BF800000
	v_cndmask_b32_e64 v11, v225, v11, s[98:99]                 // 000000007490: D100000B 018A17E1
	v_add_u32_e32 v169, 0x80, v168                             // 000000007498: 695350FF 00000080
	v_cmp_lt_u32_e64 s[98:99], v169, v219                      // 0000000074A0: D0C90062 0003B7A9
	s_nop 0                                                    // 0000000074A8: BF800000
	v_cndmask_b32_e64 v12, v225, v12, s[98:99]                 // 0000000074AC: D100000C 018A19E1
	v_add_u32_e32 v169, 0x81, v168                             // 0000000074B4: 695350FF 00000081
	v_cmp_lt_u32_e64 s[98:99], v169, v219                      // 0000000074BC: D0C90062 0003B7A9
	s_nop 0                                                    // 0000000074C4: BF800000
	v_cndmask_b32_e64 v13, v225, v13, s[98:99]                 // 0000000074C8: D100000D 018A1BE1
	v_add_u32_e32 v169, 0x82, v168                             // 0000000074D0: 695350FF 00000082
	v_cmp_lt_u32_e64 s[98:99], v169, v219                      // 0000000074D8: D0C90062 0003B7A9
	s_nop 0                                                    // 0000000074E0: BF800000
	v_cndmask_b32_e64 v14, v225, v14, s[98:99]                 // 0000000074E4: D100000E 018A1DE1
	v_add_u32_e32 v169, 0x83, v168                             // 0000000074EC: 695350FF 00000083
	v_cmp_lt_u32_e64 s[98:99], v169, v219                      // 0000000074F4: D0C90062 0003B7A9
	s_nop 0                                                    // 0000000074FC: BF800000
	v_cndmask_b32_e64 v15, v225, v15, s[98:99]                 // 000000007500: D100000F 018A1FE1
	v_add_u32_e32 v169, 0xc0, v168                             // 000000007508: 695350FF 000000C0
	v_cmp_lt_u32_e64 s[98:99], v169, v219                      // 000000007510: D0C90062 0003B7A9
	s_nop 0                                                    // 000000007518: BF800000
	v_cndmask_b32_e64 v16, v225, v16, s[98:99]                 // 00000000751C: D1000010 018A21E1
	v_add_u32_e32 v169, 0xc1, v168                             // 000000007524: 695350FF 000000C1
	v_cmp_lt_u32_e64 s[98:99], v169, v219                      // 00000000752C: D0C90062 0003B7A9
	s_nop 0                                                    // 000000007534: BF800000
	v_cndmask_b32_e64 v17, v225, v17, s[98:99]                 // 000000007538: D1000011 018A23E1
	v_add_u32_e32 v169, 0xc2, v168                             // 000000007540: 695350FF 000000C2
	v_cmp_lt_u32_e64 s[98:99], v169, v219                      // 000000007548: D0C90062 0003B7A9
	s_nop 0                                                    // 000000007550: BF800000
	v_cndmask_b32_e64 v18, v225, v18, s[98:99]                 // 000000007554: D1000012 018A25E1
	v_add_u32_e32 v169, 0xc3, v168                             // 00000000755C: 695350FF 000000C3
	v_cmp_lt_u32_e64 s[98:99], v169, v219                      // 000000007564: D0C90062 0003B7A9
	s_nop 0                                                    // 00000000756C: BF800000
	v_cndmask_b32_e64 v19, v225, v19, s[98:99]                 // 000000007570: D1000013 018A27E1
	v_add_u32_e32 v169, 0, v168                                // 000000007578: 69535080
	v_cmp_lt_u32_e64 s[98:99], v169, v220                      // 00000000757C: D0C90062 0003B9A9
	s_nop 0                                                    // 000000007584: BF800000
	v_cndmask_b32_e64 v20, v225, v20, s[98:99]                 // 000000007588: D1000014 018A29E1
	v_add_u32_e32 v169, 1, v168                                // 000000007590: 69535081
	v_cmp_lt_u32_e64 s[98:99], v169, v220                      // 000000007594: D0C90062 0003B9A9
	s_nop 0                                                    // 00000000759C: BF800000
	v_cndmask_b32_e64 v21, v225, v21, s[98:99]                 // 0000000075A0: D1000015 018A2BE1
	v_add_u32_e32 v169, 2, v168                                // 0000000075A8: 69535082
	v_cmp_lt_u32_e64 s[98:99], v169, v220                      // 0000000075AC: D0C90062 0003B9A9
	s_nop 0                                                    // 0000000075B4: BF800000
	v_cndmask_b32_e64 v22, v225, v22, s[98:99]                 // 0000000075B8: D1000016 018A2DE1
	v_add_u32_e32 v169, 3, v168                                // 0000000075C0: 69535083
	v_cmp_lt_u32_e64 s[98:99], v169, v220                      // 0000000075C4: D0C90062 0003B9A9
	s_nop 0                                                    // 0000000075CC: BF800000
	v_cndmask_b32_e64 v23, v225, v23, s[98:99]                 // 0000000075D0: D1000017 018A2FE1
	v_add_u32_e32 v169, 64, v168                               // 0000000075D8: 695350C0
	v_cmp_lt_u32_e64 s[98:99], v169, v220                      // 0000000075DC: D0C90062 0003B9A9
	s_nop 0                                                    // 0000000075E4: BF800000
	v_cndmask_b32_e64 v24, v225, v24, s[98:99]                 // 0000000075E8: D1000018 018A31E1
	v_add_u32_e32 v169, 0x41, v168                             // 0000000075F0: 695350FF 00000041
	v_cmp_lt_u32_e64 s[98:99], v169, v220                      // 0000000075F8: D0C90062 0003B9A9
	s_nop 0                                                    // 000000007600: BF800000
	v_cndmask_b32_e64 v25, v225, v25, s[98:99]                 // 000000007604: D1000019 018A33E1
	v_add_u32_e32 v169, 0x42, v168                             // 00000000760C: 695350FF 00000042
	v_cmp_lt_u32_e64 s[98:99], v169, v220                      // 000000007614: D0C90062 0003B9A9
	s_nop 0                                                    // 00000000761C: BF800000
	v_cndmask_b32_e64 v26, v225, v26, s[98:99]                 // 000000007620: D100001A 018A35E1
	v_add_u32_e32 v169, 0x43, v168                             // 000000007628: 695350FF 00000043
	v_cmp_lt_u32_e64 s[98:99], v169, v220                      // 000000007630: D0C90062 0003B9A9
	s_nop 0                                                    // 000000007638: BF800000
	v_cndmask_b32_e64 v27, v225, v27, s[98:99]                 // 00000000763C: D100001B 018A37E1
	v_add_u32_e32 v169, 0x80, v168                             // 000000007644: 695350FF 00000080
	v_cmp_lt_u32_e64 s[98:99], v169, v220                      // 00000000764C: D0C90062 0003B9A9
	s_nop 0                                                    // 000000007654: BF800000
	v_cndmask_b32_e64 v28, v225, v28, s[98:99]                 // 000000007658: D100001C 018A39E1
	v_add_u32_e32 v169, 0x81, v168                             // 000000007660: 695350FF 00000081
	v_cmp_lt_u32_e64 s[98:99], v169, v220                      // 000000007668: D0C90062 0003B9A9
	s_nop 0                                                    // 000000007670: BF800000
	v_cndmask_b32_e64 v29, v225, v29, s[98:99]                 // 000000007674: D100001D 018A3BE1
	v_add_u32_e32 v169, 0x82, v168                             // 00000000767C: 695350FF 00000082
	v_cmp_lt_u32_e64 s[98:99], v169, v220                      // 000000007684: D0C90062 0003B9A9
	s_nop 0                                                    // 00000000768C: BF800000
	v_cndmask_b32_e64 v30, v225, v30, s[98:99]                 // 000000007690: D100001E 018A3DE1
	v_add_u32_e32 v169, 0x83, v168                             // 000000007698: 695350FF 00000083
	v_cmp_lt_u32_e64 s[98:99], v169, v220                      // 0000000076A0: D0C90062 0003B9A9
	s_nop 0                                                    // 0000000076A8: BF800000
	v_cndmask_b32_e64 v31, v225, v31, s[98:99]                 // 0000000076AC: D100001F 018A3FE1
	v_add_u32_e32 v169, 0xc0, v168                             // 0000000076B4: 695350FF 000000C0
	v_cmp_lt_u32_e64 s[98:99], v169, v220                      // 0000000076BC: D0C90062 0003B9A9
	s_nop 0                                                    // 0000000076C4: BF800000
	v_cndmask_b32_e64 v32, v225, v32, s[98:99]                 // 0000000076C8: D1000020 018A41E1
	v_add_u32_e32 v169, 0xc1, v168                             // 0000000076D0: 695350FF 000000C1
	v_cmp_lt_u32_e64 s[98:99], v169, v220                      // 0000000076D8: D0C90062 0003B9A9
	s_nop 0                                                    // 0000000076E0: BF800000
	v_cndmask_b32_e64 v33, v225, v33, s[98:99]                 // 0000000076E4: D1000021 018A43E1
	v_add_u32_e32 v169, 0xc2, v168                             // 0000000076EC: 695350FF 000000C2
	v_cmp_lt_u32_e64 s[98:99], v169, v220                      // 0000000076F4: D0C90062 0003B9A9
	s_nop 0                                                    // 0000000076FC: BF800000
	v_cndmask_b32_e64 v34, v225, v34, s[98:99]                 // 000000007700: D1000022 018A45E1
	v_add_u32_e32 v169, 0xc3, v168                             // 000000007708: 695350FF 000000C3
	v_cmp_lt_u32_e64 s[98:99], v169, v220                      // 000000007710: D0C90062 0003B9A9
	s_nop 0                                                    // 000000007718: BF800000
	v_cndmask_b32_e64 v35, v225, v35, s[98:99]                 // 00000000771C: D1000023 018A47E1
	v_add_u32_e32 v168, s64, v223                              // 000000007724: 6951BE40
	v_add_u32_e32 v169, 0, v168                                // 000000007728: 69535080
	v_cmp_lt_u32_e64 s[98:99], v169, v221                      // 00000000772C: D0C90062 0003BBA9
	s_nop 0                                                    // 000000007734: BF800000
	v_cndmask_b32_e64 v36, v225, v36, s[98:99]                 // 000000007738: D1000024 018A49E1
	v_add_u32_e32 v169, 1, v168                                // 000000007740: 69535081
	v_cmp_lt_u32_e64 s[98:99], v169, v221                      // 000000007744: D0C90062 0003BBA9
	s_nop 0                                                    // 00000000774C: BF800000
	v_cndmask_b32_e64 v37, v225, v37, s[98:99]                 // 000000007750: D1000025 018A4BE1
	v_add_u32_e32 v169, 2, v168                                // 000000007758: 69535082
	v_cmp_lt_u32_e64 s[98:99], v169, v221                      // 00000000775C: D0C90062 0003BBA9
	s_nop 0                                                    // 000000007764: BF800000
	v_cndmask_b32_e64 v38, v225, v38, s[98:99]                 // 000000007768: D1000026 018A4DE1
	v_add_u32_e32 v169, 3, v168                                // 000000007770: 69535083
	v_cmp_lt_u32_e64 s[98:99], v169, v221                      // 000000007774: D0C90062 0003BBA9
	s_nop 0                                                    // 00000000777C: BF800000
	v_cndmask_b32_e64 v39, v225, v39, s[98:99]                 // 000000007780: D1000027 018A4FE1
	v_add_u32_e32 v169, 64, v168                               // 000000007788: 695350C0
	v_cmp_lt_u32_e64 s[98:99], v169, v221                      // 00000000778C: D0C90062 0003BBA9
	s_nop 0                                                    // 000000007794: BF800000
	v_cndmask_b32_e64 v40, v225, v40, s[98:99]                 // 000000007798: D1000028 018A51E1
	v_add_u32_e32 v169, 0x41, v168                             // 0000000077A0: 695350FF 00000041
	v_cmp_lt_u32_e64 s[98:99], v169, v221                      // 0000000077A8: D0C90062 0003BBA9
	s_nop 0                                                    // 0000000077B0: BF800000
	v_cndmask_b32_e64 v41, v225, v41, s[98:99]                 // 0000000077B4: D1000029 018A53E1
	v_add_u32_e32 v169, 0x42, v168                             // 0000000077BC: 695350FF 00000042
	v_cmp_lt_u32_e64 s[98:99], v169, v221                      // 0000000077C4: D0C90062 0003BBA9
	s_nop 0                                                    // 0000000077CC: BF800000
	v_cndmask_b32_e64 v42, v225, v42, s[98:99]                 // 0000000077D0: D100002A 018A55E1
	v_add_u32_e32 v169, 0x43, v168                             // 0000000077D8: 695350FF 00000043
	v_cmp_lt_u32_e64 s[98:99], v169, v221                      // 0000000077E0: D0C90062 0003BBA9
	s_nop 0                                                    // 0000000077E8: BF800000
	v_cndmask_b32_e64 v43, v225, v43, s[98:99]                 // 0000000077EC: D100002B 018A57E1
	v_mov_b32_e32 v190, v36                                    // 0000000077F4: 7F7C0324
	v_max3_f32 v190, v36, v37, v190                            // 0000000077F8: D1D300BE 06FA4B24
	v_max3_f32 v190, v38, v39, v190                            // 000000007800: D1D300BE 06FA4F26
	v_max3_f32 v190, v40, v41, v190                            // 000000007808: D1D300BE 06FA5328
	v_max3_f32 v190, v42, v43, v190                            // 000000007810: D1D300BE 06FA572A
	v_mov_b32_e32 v189, v20                                    // 000000007818: 7F7A0314
	v_max3_f32 v189, v20, v21, v189                            // 00000000781C: D1D300BD 06F62B14
	v_max3_f32 v189, v22, v23, v189                            // 000000007824: D1D300BD 06F62F16
	v_max3_f32 v189, v24, v25, v189                            // 00000000782C: D1D300BD 06F63318
	v_max3_f32 v189, v26, v27, v189                            // 000000007834: D1D300BD 06F6371A
	v_max3_f32 v189, v28, v29, v189                            // 00000000783C: D1D300BD 06F63B1C
	v_max3_f32 v189, v30, v31, v189                            // 000000007844: D1D300BD 06F63F1E
	v_max3_f32 v189, v32, v33, v189                            // 00000000784C: D1D300BD 06F64320
	v_max3_f32 v189, v34, v35, v189                            // 000000007854: D1D300BD 06F64722
	v_mov_b32_e32 v188, v4                                     // 00000000785C: 7F780304
	v_max3_f32 v188, v4, v5, v188                              // 000000007860: D1D300BC 06F20B04
	v_max3_f32 v188, v6, v7, v188                              // 000000007868: D1D300BC 06F20F06
	v_max3_f32 v188, v8, v9, v188                              // 000000007870: D1D300BC 06F21308
	v_max3_f32 v188, v10, v11, v188                            // 000000007878: D1D300BC 06F2170A
	v_max3_f32 v188, v12, v13, v188                            // 000000007880: D1D300BC 06F21B0C
	v_max3_f32 v188, v14, v15, v188                            // 000000007888: D1D300BC 06F21F0E
	v_max3_f32 v188, v16, v17, v188                            // 000000007890: D1D300BC 06F22310
	v_max3_f32 v188, v18, v19, v188                            // 000000007898: D1D300BC 06F22712
	v_max_f32_dpp v190, v190, v190 row_ror:8 row_mask:0xf bank_mask:0xf// 0000000078A0: 177D7CFA FF0128BE
	ds_bpermute_b32 v172, v212, v188                           // 0000000078A8: D87E0000 AC00BCD4
	ds_bpermute_b32 v173, v213, v188                           // 0000000078B0: D87E0000 AD00BCD5
	ds_bpermute_b32 v174, v214, v188                           // 0000000078B8: D87E0000 AE00BCD6
	ds_bpermute_b32 v175, v212, v189                           // 0000000078C0: D87E0000 AF00BDD4
	ds_bpermute_b32 v176, v213, v189                           // 0000000078C8: D87E0000 B000BDD5
	ds_bpermute_b32 v177, v214, v189                           // 0000000078D0: D87E0000 B100BDD6
	ds_bpermute_b32 v178, v212, v190                           // 0000000078D8: D87E0000 B200BED4
	ds_bpermute_b32 v179, v213, v190                           // 0000000078E0: D87E0000 B300BED5
	ds_bpermute_b32 v180, v214, v190                           // 0000000078E8: D87E0000 B400BED6
	v_pk_mul_f32 v[124:125], v[200:201], v[124:125]            // 0000000078F0: D3B1407C 1802F9C8
	v_pk_mul_f32 v[126:127], v[200:201], v[126:127]            // 0000000078F8: D3B1407E 1802FDC8
	v_pk_mul_f32 v[128:129], v[200:201], v[128:129]            // 000000007900: D3B14080 180301C8
	v_pk_mul_f32 v[130:131], v[200:201], v[130:131]            // 000000007908: D3B14082 180305C8
	v_pk_mul_f32 v[132:133], v[202:203], v[132:133]            // 000000007910: D3B14084 180309CA
	v_pk_mul_f32 v[134:135], v[202:203], v[134:135]            // 000000007918: D3B14086 18030DCA
	v_pk_mul_f32 v[136:137], v[202:203], v[136:137]            // 000000007920: D3B14088 180311CA
	v_pk_mul_f32 v[138:139], v[202:203], v[138:139]            // 000000007928: D3B1408A 180315CA
	v_pk_mul_f32 v[140:141], v[204:205], v[140:141]            // 000000007930: D3B1408C 180319CC
	v_pk_mul_f32 v[142:143], v[204:205], v[142:143]            // 000000007938: D3B1408E 18031DCC
	v_pk_mul_f32 v[144:145], v[204:205], v[144:145]            // 000000007940: D3B14090 180321CC
	v_pk_mul_f32 v[146:147], v[204:205], v[146:147]            // 000000007948: D3B14092 180325CC
	s_waitcnt lgkmcnt(6)                                       // 000000007950: BF8CC67F
	v_max3_f32 v188, v172, v173, v188                          // 000000007954: D1D300BC 06F35BAC
	v_max_f32_e32 v188, v174, v188                             // 00000000795C: 177979AE
	s_waitcnt lgkmcnt(3)                                       // 000000007960: BF8CC37F
	v_max3_f32 v189, v175, v176, v189                          // 000000007964: D1D300BD 06F761AF
	v_max_f32_e32 v189, v177, v189                             // 00000000796C: 177B7BB1
	s_waitcnt lgkmcnt(0)                                       // 000000007970: BF8CC07F
	v_max3_f32 v190, v178, v179, v190                          // 000000007974: D1D300BE 06FB67B2
	v_max_f32_e32 v190, v180, v190                             // 00000000797C: 177D7DB4
	ds_write_b128 v252, v[188:191]                             // 000000007980: D9BE0000 0000BCFC
	s_waitcnt lgkmcnt(0)                                       // 000000007988: BF8CC07F
	s_barrier                                                  // 00000000798C: BF8A0000
	ds_read_b128 v[172:175], v253                              // 000000007990: D9FE0000 AC0000FD
	ds_read_b128 v[176:179], v253 offset:256                   // 000000007998: D9FE0100 B00000FD
	ds_read_b128 v[180:183], v253 offset:512                   // 0000000079A0: D9FE0200 B40000FD
	ds_read_b128 v[184:187], v253 offset:768                   // 0000000079A8: D9FE0300 B80000FD
	v_pk_mul_f32 v[100:101], v[158:159], v[100:101]            // 0000000079B0: D3B14064 1802C99E
	v_pk_mul_f32 v[102:103], v[158:159], v[102:103]            // 0000000079B8: D3B14066 1802CD9E
	v_pk_mul_f32 v[104:105], v[158:159], v[104:105]            // 0000000079C0: D3B14068 1802D19E
	v_pk_mul_f32 v[106:107], v[158:159], v[106:107]            // 0000000079C8: D3B1406A 1802D59E
	v_pk_mul_f32 v[108:109], v[160:161], v[108:109]            // 0000000079D0: D3B1406C 1802D9A0
	v_pk_mul_f32 v[110:111], v[160:161], v[110:111]            // 0000000079D8: D3B1406E 1802DDA0
	v_pk_mul_f32 v[112:113], v[160:161], v[112:113]            // 0000000079E0: D3B14070 1802E1A0
	v_pk_mul_f32 v[114:115], v[160:161], v[114:115]            // 0000000079E8: D3B14072 1802E5A0
	v_pk_mul_f32 v[116:117], v[162:163], v[116:117]            // 0000000079F0: D3B14074 1802E9A2
	v_pk_mul_f32 v[118:119], v[162:163], v[118:119]            // 0000000079F8: D3B14076 1802EDA2
	v_pk_mul_f32 v[120:121], v[162:163], v[120:121]            // 000000007A00: D3B14078 1802F1A2
	v_pk_mul_f32 v[122:123], v[162:163], v[122:123]            // 000000007A08: D3B1407A 1802F5A2
	s_waitcnt lgkmcnt(0)                                       // 000000007A10: BF8CC07F
	v_max3_f32 v188, v172, v176, v188                          // 000000007A14: D1D300BC 06F361AC
	v_max3_f32 v189, v173, v177, v189                          // 000000007A1C: D1D300BD 06F763AD
	v_max3_f32 v190, v174, v178, v190                          // 000000007A24: D1D300BE 06FB65AE
	v_max3_f32 v188, v180, v184, v188                          // 000000007A2C: D1D300BC 06F371B4
	v_max3_f32 v189, v181, v185, v189                          // 000000007A34: D1D300BD 06F773B5
	v_max3_f32 v190, v182, v186, v190                          // 000000007A3C: D1D300BE 06FB75B6
	v_max_f32_e32 v197, v188, v194                             // 000000007A44: 178B85BC
	v_mul_f32_e64 v168, -s46, v197                             // 000000007A48: D10500A8 20038A2E
	v_mov_b32_e32 v169, v168                                   // 000000007A50: 7F5203A8
	v_pk_fma_f32 v[4:5], v[4:5], s[46:47], v[168:169]          // 000000007A54: D3B04004 1EA05D04
	v_pk_fma_f32 v[6:7], v[6:7], s[46:47], v[168:169]          // 000000007A5C: D3B04006 1EA05D06
	v_exp_f32_e32 v4, v4                                       // 000000007A64: 7E084104
	v_exp_f32_e32 v5, v5                                       // 000000007A68: 7E0A4105
	v_exp_f32_e32 v6, v6                                       // 000000007A6C: 7E0C4106
	v_exp_f32_e32 v7, v7                                       // 000000007A70: 7E0E4107
	v_pk_fma_f32 v[8:9], v[8:9], s[46:47], v[168:169]          // 000000007A74: D3B04008 1EA05D08
	v_pk_fma_f32 v[10:11], v[10:11], s[46:47], v[168:169]      // 000000007A7C: D3B0400A 1EA05D0A
	v_exp_f32_e32 v8, v8                                       // 000000007A84: 7E104108
	v_exp_f32_e32 v9, v9                                       // 000000007A88: 7E124109
	v_exp_f32_e32 v10, v10                                     // 000000007A8C: 7E14410A
	v_exp_f32_e32 v11, v11                                     // 000000007A90: 7E16410B
	v_pk_fma_f32 v[12:13], v[12:13], s[46:47], v[168:169]      // 000000007A94: D3B0400C 1EA05D0C
	v_pk_fma_f32 v[14:15], v[14:15], s[46:47], v[168:169]      // 000000007A9C: D3B0400E 1EA05D0E
	v_exp_f32_e32 v12, v12                                     // 000000007AA4: 7E18410C
	v_exp_f32_e32 v13, v13                                     // 000000007AA8: 7E1A410D
	v_exp_f32_e32 v14, v14                                     // 000000007AAC: 7E1C410E
	v_exp_f32_e32 v15, v15                                     // 000000007AB0: 7E1E410F
	v_pk_fma_f32 v[16:17], v[16:17], s[46:47], v[168:169]      // 000000007AB4: D3B04010 1EA05D10
	v_pk_fma_f32 v[18:19], v[18:19], s[46:47], v[168:169]      // 000000007ABC: D3B04012 1EA05D12
	v_exp_f32_e32 v16, v16                                     // 000000007AC4: 7E204110
	v_exp_f32_e32 v17, v17                                     // 000000007AC8: 7E224111
	v_exp_f32_e32 v18, v18                                     // 000000007ACC: 7E244112
	v_exp_f32_e32 v19, v19                                     // 000000007AD0: 7E264113
	v_max_f32_e32 v198, v189, v195                             // 000000007AD4: 178D87BD
	v_mul_f32_e64 v168, -s46, v198                             // 000000007AD8: D10500A8 20038C2E
	v_mov_b32_e32 v169, v168                                   // 000000007AE0: 7F5203A8
	v_pk_fma_f32 v[20:21], v[20:21], s[46:47], v[168:169]      // 000000007AE4: D3B04014 1EA05D14
	v_pk_fma_f32 v[22:23], v[22:23], s[46:47], v[168:169]      // 000000007AEC: D3B04016 1EA05D16
	v_exp_f32_e32 v20, v20                                     // 000000007AF4: 7E284114
	v_exp_f32_e32 v21, v21                                     // 000000007AF8: 7E2A4115
	v_exp_f32_e32 v22, v22                                     // 000000007AFC: 7E2C4116
	v_exp_f32_e32 v23, v23                                     // 000000007B00: 7E2E4117
	v_pk_fma_f32 v[24:25], v[24:25], s[46:47], v[168:169]      // 000000007B04: D3B04018 1EA05D18
	v_pk_fma_f32 v[26:27], v[26:27], s[46:47], v[168:169]      // 000000007B0C: D3B0401A 1EA05D1A
	v_exp_f32_e32 v24, v24                                     // 000000007B14: 7E304118
	v_exp_f32_e32 v25, v25                                     // 000000007B18: 7E324119
	v_exp_f32_e32 v26, v26                                     // 000000007B1C: 7E34411A
	v_exp_f32_e32 v27, v27                                     // 000000007B20: 7E36411B
	v_pk_fma_f32 v[28:29], v[28:29], s[46:47], v[168:169]      // 000000007B24: D3B0401C 1EA05D1C
	v_pk_fma_f32 v[30:31], v[30:31], s[46:47], v[168:169]      // 000000007B2C: D3B0401E 1EA05D1E
	v_exp_f32_e32 v28, v28                                     // 000000007B34: 7E38411C
	v_exp_f32_e32 v29, v29                                     // 000000007B38: 7E3A411D
	v_exp_f32_e32 v30, v30                                     // 000000007B3C: 7E3C411E
	v_exp_f32_e32 v31, v31                                     // 000000007B40: 7E3E411F
	v_pk_fma_f32 v[32:33], v[32:33], s[46:47], v[168:169]      // 000000007B44: D3B04020 1EA05D20
	v_pk_fma_f32 v[34:35], v[34:35], s[46:47], v[168:169]      // 000000007B4C: D3B04022 1EA05D22
	v_exp_f32_e32 v32, v32                                     // 000000007B54: 7E404120
	v_exp_f32_e32 v33, v33                                     // 000000007B58: 7E424121
	v_exp_f32_e32 v34, v34                                     // 000000007B5C: 7E444122
	v_exp_f32_e32 v35, v35                                     // 000000007B60: 7E464123
	v_max_f32_e32 v199, v190, v196                             // 000000007B64: 178F89BE
	v_mul_f32_e64 v168, -s46, v199                             // 000000007B68: D10500A8 20038E2E
	v_mov_b32_e32 v169, v168                                   // 000000007B70: 7F5203A8
	v_pk_fma_f32 v[36:37], v[36:37], s[46:47], v[168:169]      // 000000007B74: D3B04024 1EA05D24
	v_pk_fma_f32 v[38:39], v[38:39], s[46:47], v[168:169]      // 000000007B7C: D3B04026 1EA05D26
	v_exp_f32_e32 v36, v36                                     // 000000007B84: 7E484124
	v_exp_f32_e32 v37, v37                                     // 000000007B88: 7E4A4125
	v_exp_f32_e32 v38, v38                                     // 000000007B8C: 7E4C4126
	v_exp_f32_e32 v39, v39                                     // 000000007B90: 7E4E4127
	v_pk_fma_f32 v[40:41], v[40:41], s[46:47], v[168:169]      // 000000007B94: D3B04028 1EA05D28
	v_pk_fma_f32 v[42:43], v[42:43], s[46:47], v[168:169]      // 000000007B9C: D3B0402A 1EA05D2A
	v_exp_f32_e32 v40, v40                                     // 000000007BA4: 7E504128
	v_exp_f32_e32 v41, v41                                     // 000000007BA8: 7E524129
	v_exp_f32_e32 v42, v42                                     // 000000007BAC: 7E54412A
	v_exp_f32_e32 v43, v43                                     // 000000007BB0: 7E56412B
	v_mul_f32_e32 v52, v156, v4                                // 000000007BB4: 0A68099C
	v_mul_f32_e32 v53, v156, v5                                // 000000007BB8: 0A6A0B9C
	v_mul_f32_e32 v54, v156, v6                                // 000000007BBC: 0A6C0D9C
	v_mul_f32_e32 v55, v156, v7                                // 000000007BC0: 0A6E0F9C
	v_mul_f32_e32 v56, v156, v8                                // 000000007BC4: 0A70119C
	v_mul_f32_e32 v57, v156, v9                                // 000000007BC8: 0A72139C
	v_mul_f32_e32 v58, v156, v10                               // 000000007BCC: 0A74159C
	v_mul_f32_e32 v59, v156, v11                               // 000000007BD0: 0A76179C
	v_mul_f32_e32 v60, v156, v12                               // 000000007BD4: 0A78199C
	v_mul_f32_e32 v61, v156, v13                               // 000000007BD8: 0A7A1B9C
	v_mul_f32_e32 v62, v156, v14                               // 000000007BDC: 0A7C1D9C
	v_mul_f32_e32 v63, v156, v15                               // 000000007BE0: 0A7E1F9C
	v_mul_f32_e32 v64, v156, v16                               // 000000007BE4: 0A80219C
	v_mul_f32_e32 v65, v156, v17                               // 000000007BE8: 0A82239C
	v_mul_f32_e32 v66, v156, v18                               // 000000007BEC: 0A84259C
	v_mul_f32_e32 v67, v156, v19                               // 000000007BF0: 0A86279C
	v_mul_f32_e32 v68, v156, v20                               // 000000007BF4: 0A88299C
	v_mul_f32_e32 v69, v156, v21                               // 000000007BF8: 0A8A2B9C
	v_mul_f32_e32 v70, v156, v22                               // 000000007BFC: 0A8C2D9C
	v_mul_f32_e32 v71, v156, v23                               // 000000007C00: 0A8E2F9C
	v_mul_f32_e32 v72, v156, v24                               // 000000007C04: 0A90319C
	v_mul_f32_e32 v73, v156, v25                               // 000000007C08: 0A92339C
	v_mul_f32_e32 v74, v156, v26                               // 000000007C0C: 0A94359C
	v_mul_f32_e32 v75, v156, v27                               // 000000007C10: 0A96379C
	v_mul_f32_e32 v76, v156, v28                               // 000000007C14: 0A98399C
	v_mul_f32_e32 v77, v156, v29                               // 000000007C18: 0A9A3B9C
	v_mul_f32_e32 v78, v156, v30                               // 000000007C1C: 0A9C3D9C
	v_mul_f32_e32 v79, v156, v31                               // 000000007C20: 0A9E3F9C
	v_mul_f32_e32 v80, v156, v32                               // 000000007C24: 0AA0419C
	v_mul_f32_e32 v81, v156, v33                               // 000000007C28: 0AA2439C
	v_mul_f32_e32 v82, v156, v34                               // 000000007C2C: 0AA4459C
	v_mul_f32_e32 v83, v156, v35                               // 000000007C30: 0AA6479C
	v_mul_f32_e32 v84, v156, v36                               // 000000007C34: 0AA8499C
	v_mul_f32_e32 v85, v156, v37                               // 000000007C38: 0AAA4B9C
	v_mul_f32_e32 v86, v156, v38                               // 000000007C3C: 0AAC4D9C
	v_mul_f32_e32 v87, v156, v39                               // 000000007C40: 0AAE4F9C
	v_mul_f32_e32 v88, v156, v40                               // 000000007C44: 0AB0519C
	v_mul_f32_e32 v89, v156, v41                               // 000000007C48: 0AB2539C
	v_mul_f32_e32 v90, v156, v42                               // 000000007C4C: 0AB4559C
	v_mul_f32_e32 v91, v156, v43                               // 000000007C50: 0AB6579C
	v_add_u32_e32 v168, s64, v222                              // 000000007C54: 6951BC40
	v_add_u32_e32 v169, 0, v168                                // 000000007C58: 69535080
	v_cmp_lt_u32_e32 vcc, v169, v219                           // 000000007C5C: 7D93B7A9
	s_nop 0                                                    // 000000007C60: BF800000
	v_cndmask_b32_e32 v52, 0, v52, vcc                         // 000000007C64: 00686880
	v_add_u32_e32 v169, 1, v168                                // 000000007C68: 69535081
	v_cmp_lt_u32_e32 vcc, v169, v219                           // 000000007C6C: 7D93B7A9
	s_nop 0                                                    // 000000007C70: BF800000
	v_cndmask_b32_e32 v53, 0, v53, vcc                         // 000000007C74: 006A6A80
	v_add_u32_e32 v169, 2, v168                                // 000000007C78: 69535082
	v_cmp_lt_u32_e32 vcc, v169, v219                           // 000000007C7C: 7D93B7A9
	s_nop 0                                                    // 000000007C80: BF800000
	v_cndmask_b32_e32 v54, 0, v54, vcc                         // 000000007C84: 006C6C80
	v_add_u32_e32 v169, 3, v168                                // 000000007C88: 69535083
	v_cmp_lt_u32_e32 vcc, v169, v219                           // 000000007C8C: 7D93B7A9
	s_nop 0                                                    // 000000007C90: BF800000
	v_cndmask_b32_e32 v55, 0, v55, vcc                         // 000000007C94: 006E6E80
	v_add_u32_e32 v169, 64, v168                               // 000000007C98: 695350C0
	v_cmp_lt_u32_e32 vcc, v169, v219                           // 000000007C9C: 7D93B7A9
	s_nop 0                                                    // 000000007CA0: BF800000
	v_cndmask_b32_e32 v56, 0, v56, vcc                         // 000000007CA4: 00707080
	v_add_u32_e32 v169, 0x41, v168                             // 000000007CA8: 695350FF 00000041
	v_cmp_lt_u32_e32 vcc, v169, v219                           // 000000007CB0: 7D93B7A9
	s_nop 0                                                    // 000000007CB4: BF800000
	v_cndmask_b32_e32 v57, 0, v57, vcc                         // 000000007CB8: 00727280
	v_add_u32_e32 v169, 0x42, v168                             // 000000007CBC: 695350FF 00000042
	v_cmp_lt_u32_e32 vcc, v169, v219                           // 000000007CC4: 7D93B7A9
	s_nop 0                                                    // 000000007CC8: BF800000
	v_cndmask_b32_e32 v58, 0, v58, vcc                         // 000000007CCC: 00747480
	v_add_u32_e32 v169, 0x43, v168                             // 000000007CD0: 695350FF 00000043
	v_cmp_lt_u32_e32 vcc, v169, v219                           // 000000007CD8: 7D93B7A9
	s_nop 0                                                    // 000000007CDC: BF800000
	v_cndmask_b32_e32 v59, 0, v59, vcc                         // 000000007CE0: 00767680
	v_add_u32_e32 v169, 0x80, v168                             // 000000007CE4: 695350FF 00000080
	v_cmp_lt_u32_e32 vcc, v169, v219                           // 000000007CEC: 7D93B7A9
	s_nop 0                                                    // 000000007CF0: BF800000
	v_cndmask_b32_e32 v60, 0, v60, vcc                         // 000000007CF4: 00787880
	v_add_u32_e32 v169, 0x81, v168                             // 000000007CF8: 695350FF 00000081
	v_cmp_lt_u32_e32 vcc, v169, v219                           // 000000007D00: 7D93B7A9
	s_nop 0                                                    // 000000007D04: BF800000
	v_cndmask_b32_e32 v61, 0, v61, vcc                         // 000000007D08: 007A7A80
	v_add_u32_e32 v169, 0x82, v168                             // 000000007D0C: 695350FF 00000082
	v_cmp_lt_u32_e32 vcc, v169, v219                           // 000000007D14: 7D93B7A9
	s_nop 0                                                    // 000000007D18: BF800000
	v_cndmask_b32_e32 v62, 0, v62, vcc                         // 000000007D1C: 007C7C80
	v_add_u32_e32 v169, 0x83, v168                             // 000000007D20: 695350FF 00000083
	v_cmp_lt_u32_e32 vcc, v169, v219                           // 000000007D28: 7D93B7A9
	s_nop 0                                                    // 000000007D2C: BF800000
	v_cndmask_b32_e32 v63, 0, v63, vcc                         // 000000007D30: 007E7E80
	v_add_u32_e32 v169, 0xc0, v168                             // 000000007D34: 695350FF 000000C0
	v_cmp_lt_u32_e32 vcc, v169, v219                           // 000000007D3C: 7D93B7A9
	s_nop 0                                                    // 000000007D40: BF800000
	v_cndmask_b32_e32 v64, 0, v64, vcc                         // 000000007D44: 00808080
	v_add_u32_e32 v169, 0xc1, v168                             // 000000007D48: 695350FF 000000C1
	v_cmp_lt_u32_e32 vcc, v169, v219                           // 000000007D50: 7D93B7A9
	s_nop 0                                                    // 000000007D54: BF800000
	v_cndmask_b32_e32 v65, 0, v65, vcc                         // 000000007D58: 00828280
	v_add_u32_e32 v169, 0xc2, v168                             // 000000007D5C: 695350FF 000000C2
	v_cmp_lt_u32_e32 vcc, v169, v219                           // 000000007D64: 7D93B7A9
	s_nop 0                                                    // 000000007D68: BF800000
	v_cndmask_b32_e32 v66, 0, v66, vcc                         // 000000007D6C: 00848480
	v_add_u32_e32 v169, 0xc3, v168                             // 000000007D70: 695350FF 000000C3
	v_cmp_lt_u32_e32 vcc, v169, v219                           // 000000007D78: 7D93B7A9
	s_nop 0                                                    // 000000007D7C: BF800000
	v_cndmask_b32_e32 v67, 0, v67, vcc                         // 000000007D80: 00868680
	v_add_u32_e32 v169, 0, v168                                // 000000007D84: 69535080
	v_cmp_lt_u32_e32 vcc, v169, v220                           // 000000007D88: 7D93B9A9
	s_nop 0                                                    // 000000007D8C: BF800000
	v_cndmask_b32_e32 v68, 0, v68, vcc                         // 000000007D90: 00888880
	v_add_u32_e32 v169, 1, v168                                // 000000007D94: 69535081
	v_cmp_lt_u32_e32 vcc, v169, v220                           // 000000007D98: 7D93B9A9
	s_nop 0                                                    // 000000007D9C: BF800000
	v_cndmask_b32_e32 v69, 0, v69, vcc                         // 000000007DA0: 008A8A80
	v_add_u32_e32 v169, 2, v168                                // 000000007DA4: 69535082
	v_cmp_lt_u32_e32 vcc, v169, v220                           // 000000007DA8: 7D93B9A9
	s_nop 0                                                    // 000000007DAC: BF800000
	v_cndmask_b32_e32 v70, 0, v70, vcc                         // 000000007DB0: 008C8C80
	v_add_u32_e32 v169, 3, v168                                // 000000007DB4: 69535083
	v_cmp_lt_u32_e32 vcc, v169, v220                           // 000000007DB8: 7D93B9A9
	s_nop 0                                                    // 000000007DBC: BF800000
	v_cndmask_b32_e32 v71, 0, v71, vcc                         // 000000007DC0: 008E8E80
	v_add_u32_e32 v169, 64, v168                               // 000000007DC4: 695350C0
	v_cmp_lt_u32_e32 vcc, v169, v220                           // 000000007DC8: 7D93B9A9
	s_nop 0                                                    // 000000007DCC: BF800000
	v_cndmask_b32_e32 v72, 0, v72, vcc                         // 000000007DD0: 00909080
	v_add_u32_e32 v169, 0x41, v168                             // 000000007DD4: 695350FF 00000041
	v_cmp_lt_u32_e32 vcc, v169, v220                           // 000000007DDC: 7D93B9A9
	s_nop 0                                                    // 000000007DE0: BF800000
	v_cndmask_b32_e32 v73, 0, v73, vcc                         // 000000007DE4: 00929280
	v_add_u32_e32 v169, 0x42, v168                             // 000000007DE8: 695350FF 00000042
	v_cmp_lt_u32_e32 vcc, v169, v220                           // 000000007DF0: 7D93B9A9
	s_nop 0                                                    // 000000007DF4: BF800000
	v_cndmask_b32_e32 v74, 0, v74, vcc                         // 000000007DF8: 00949480
	v_add_u32_e32 v169, 0x43, v168                             // 000000007DFC: 695350FF 00000043
	v_cmp_lt_u32_e32 vcc, v169, v220                           // 000000007E04: 7D93B9A9
	s_nop 0                                                    // 000000007E08: BF800000
	v_cndmask_b32_e32 v75, 0, v75, vcc                         // 000000007E0C: 00969680
	v_add_u32_e32 v169, 0x80, v168                             // 000000007E10: 695350FF 00000080
	v_cmp_lt_u32_e32 vcc, v169, v220                           // 000000007E18: 7D93B9A9
	s_nop 0                                                    // 000000007E1C: BF800000
	v_cndmask_b32_e32 v76, 0, v76, vcc                         // 000000007E20: 00989880
	v_add_u32_e32 v169, 0x81, v168                             // 000000007E24: 695350FF 00000081
	v_cmp_lt_u32_e32 vcc, v169, v220                           // 000000007E2C: 7D93B9A9
	s_nop 0                                                    // 000000007E30: BF800000
	v_cndmask_b32_e32 v77, 0, v77, vcc                         // 000000007E34: 009A9A80
	v_add_u32_e32 v169, 0x82, v168                             // 000000007E38: 695350FF 00000082
	v_cmp_lt_u32_e32 vcc, v169, v220                           // 000000007E40: 7D93B9A9
	s_nop 0                                                    // 000000007E44: BF800000
	v_cndmask_b32_e32 v78, 0, v78, vcc                         // 000000007E48: 009C9C80
	v_add_u32_e32 v169, 0x83, v168                             // 000000007E4C: 695350FF 00000083
	v_cmp_lt_u32_e32 vcc, v169, v220                           // 000000007E54: 7D93B9A9
	s_nop 0                                                    // 000000007E58: BF800000
	v_cndmask_b32_e32 v79, 0, v79, vcc                         // 000000007E5C: 009E9E80
	v_add_u32_e32 v169, 0xc0, v168                             // 000000007E60: 695350FF 000000C0
	v_cmp_lt_u32_e32 vcc, v169, v220                           // 000000007E68: 7D93B9A9
	s_nop 0                                                    // 000000007E6C: BF800000
	v_cndmask_b32_e32 v80, 0, v80, vcc                         // 000000007E70: 00A0A080
	v_add_u32_e32 v169, 0xc1, v168                             // 000000007E74: 695350FF 000000C1
	v_cmp_lt_u32_e32 vcc, v169, v220                           // 000000007E7C: 7D93B9A9
	s_nop 0                                                    // 000000007E80: BF800000
	v_cndmask_b32_e32 v81, 0, v81, vcc                         // 000000007E84: 00A2A280
	v_add_u32_e32 v169, 0xc2, v168                             // 000000007E88: 695350FF 000000C2
	v_cmp_lt_u32_e32 vcc, v169, v220                           // 000000007E90: 7D93B9A9
	s_nop 0                                                    // 000000007E94: BF800000
	v_cndmask_b32_e32 v82, 0, v82, vcc                         // 000000007E98: 00A4A480
	v_add_u32_e32 v169, 0xc3, v168                             // 000000007E9C: 695350FF 000000C3
	v_cmp_lt_u32_e32 vcc, v169, v220                           // 000000007EA4: 7D93B9A9
	s_nop 0                                                    // 000000007EA8: BF800000
	v_cndmask_b32_e32 v83, 0, v83, vcc                         // 000000007EAC: 00A6A680
	v_add_u32_e32 v168, s64, v223                              // 000000007EB0: 6951BE40
	v_add_u32_e32 v169, 0, v168                                // 000000007EB4: 69535080
	v_cmp_lt_u32_e32 vcc, v169, v221                           // 000000007EB8: 7D93BBA9
	s_nop 0                                                    // 000000007EBC: BF800000
	v_cndmask_b32_e32 v84, 0, v84, vcc                         // 000000007EC0: 00A8A880
	v_add_u32_e32 v169, 1, v168                                // 000000007EC4: 69535081
	v_cmp_lt_u32_e32 vcc, v169, v221                           // 000000007EC8: 7D93BBA9
	s_nop 0                                                    // 000000007ECC: BF800000
	v_cndmask_b32_e32 v85, 0, v85, vcc                         // 000000007ED0: 00AAAA80
	v_add_u32_e32 v169, 2, v168                                // 000000007ED4: 69535082
	v_cmp_lt_u32_e32 vcc, v169, v221                           // 000000007ED8: 7D93BBA9
	s_nop 0                                                    // 000000007EDC: BF800000
	v_cndmask_b32_e32 v86, 0, v86, vcc                         // 000000007EE0: 00ACAC80
	v_add_u32_e32 v169, 3, v168                                // 000000007EE4: 69535083
	v_cmp_lt_u32_e32 vcc, v169, v221                           // 000000007EE8: 7D93BBA9
	s_nop 0                                                    // 000000007EEC: BF800000
	v_cndmask_b32_e32 v87, 0, v87, vcc                         // 000000007EF0: 00AEAE80
	v_add_u32_e32 v169, 64, v168                               // 000000007EF4: 695350C0
	v_cmp_lt_u32_e32 vcc, v169, v221                           // 000000007EF8: 7D93BBA9
	s_nop 0                                                    // 000000007EFC: BF800000
	v_cndmask_b32_e32 v88, 0, v88, vcc                         // 000000007F00: 00B0B080
	v_add_u32_e32 v169, 0x41, v168                             // 000000007F04: 695350FF 00000041
	v_cmp_lt_u32_e32 vcc, v169, v221                           // 000000007F0C: 7D93BBA9
	s_nop 0                                                    // 000000007F10: BF800000
	v_cndmask_b32_e32 v89, 0, v89, vcc                         // 000000007F14: 00B2B280
	v_add_u32_e32 v169, 0x42, v168                             // 000000007F18: 695350FF 00000042
	v_cmp_lt_u32_e32 vcc, v169, v221                           // 000000007F20: 7D93BBA9
	s_nop 0                                                    // 000000007F24: BF800000
	v_cndmask_b32_e32 v90, 0, v90, vcc                         // 000000007F28: 00B4B480
	v_add_u32_e32 v169, 0x43, v168                             // 000000007F2C: 695350FF 00000043
	v_cmp_lt_u32_e32 vcc, v169, v221                           // 000000007F34: 7D93BBA9
	s_nop 0                                                    // 000000007F38: BF800000
	v_cndmask_b32_e32 v91, 0, v91, vcc                         // 000000007F3C: 00B6B680
	buffer_load_dword v155, v238, s[20:23], 0 offen            // 000000007F40: E0501000 80059BEE
	v_sub_f32_e32 v200, v194, v197                             // 000000007F48: 05918BC2
	v_cmp_eq_u32_e64 s[98:99], v225, v194                      // 000000007F4C: D0CA0062 000385E1
	v_cndmask_b32_e64 v200, v200, 0, s[98:99]                  // 000000007F54: D10000C8 018901C8
	v_mov_b32_e32 v194, v197                                   // 000000007F5C: 7F8403C5
	v_mul_f32_e32 v200, s46, v200                              // 000000007F60: 0B91902E
	v_exp_f32_e32 v200, v200                                   // 000000007F64: 7F9041C8
	v_sub_f32_e32 v202, v195, v198                             // 000000007F68: 05958DC3
	v_cmp_eq_u32_e64 s[98:99], v225, v195                      // 000000007F6C: D0CA0062 000387E1
	v_cndmask_b32_e64 v202, v202, 0, s[98:99]                  // 000000007F74: D10000CA 018901CA
	v_mov_b32_e32 v195, v198                                   // 000000007F7C: 7F8603C6
	v_mul_f32_e32 v202, s46, v202                              // 000000007F80: 0B95942E
	v_exp_f32_e32 v202, v202                                   // 000000007F84: 7F9441CA
	v_sub_f32_e32 v204, v196, v199                             // 000000007F88: 05998FC4
	v_cmp_eq_u32_e64 s[98:99], v225, v196                      // 000000007F8C: D0CA0062 000389E1
	v_cndmask_b32_e64 v204, v204, 0, s[98:99]                  // 000000007F94: D10000CC 018901CC
	v_mov_b32_e32 v196, v199                                   // 000000007F9C: 7F8803C7
	v_mul_f32_e32 v204, s46, v204                              // 000000007FA0: 0B99982E
	v_exp_f32_e32 v204, v204                                   // 000000007FA4: 7F9841CC
	v_mov_b32_e32 v201, v200                                   // 000000007FA8: 7F9203C8
	v_mov_b32_e32 v203, v202                                   // 000000007FAC: 7F9603CA
	v_mov_b32_e32 v205, v204                                   // 000000007FB0: 7F9A03CC
	s_waitcnt lgkmcnt(0)                                       // 000000007FB4: BF8CC07F
	s_barrier                                                  // 000000007FB8: BF8A0000
	buffer_load_dword v157, v239, s[24:27], 0 offen            // 000000007FBC: E0501000 80069DEF
	v_mul_f32_e32 v206, v200, v206                             // 000000007FC4: 0B9D9DC8
	v_mov_b32_e32 v207, 0                                      // 000000007FC8: 7F9E0280
	v_pk_add_f32 v[206:207], v[4:5], v[206:207]                // 000000007FCC: D3B240CE 18039D04
	v_pk_add_f32 v[206:207], v[6:7], v[206:207]                // 000000007FD4: D3B240CE 18039D06
	v_pk_add_f32 v[206:207], v[8:9], v[206:207]                // 000000007FDC: D3B240CE 18039D08
	v_pk_add_f32 v[206:207], v[10:11], v[206:207]              // 000000007FE4: D3B240CE 18039D0A
	v_pk_add_f32 v[206:207], v[12:13], v[206:207]              // 000000007FEC: D3B240CE 18039D0C
	v_pk_add_f32 v[206:207], v[14:15], v[206:207]              // 000000007FF4: D3B240CE 18039D0E
	v_pk_add_f32 v[206:207], v[16:17], v[206:207]              // 000000007FFC: D3B240CE 18039D10
	v_pk_add_f32 v[206:207], v[18:19], v[206:207]              // 000000008004: D3B240CE 18039D12
	v_add_f32_e32 v206, v207, v206                             // 00000000800C: 039D9DCF
	v_mul_f32_e32 v208, v202, v208                             // 000000008010: 0BA1A1CA
	v_mov_b32_e32 v209, 0                                      // 000000008014: 7FA20280
	v_pk_add_f32 v[208:209], v[20:21], v[208:209]              // 000000008018: D3B240D0 1803A114
	v_pk_add_f32 v[208:209], v[22:23], v[208:209]              // 000000008020: D3B240D0 1803A116
	v_pk_add_f32 v[208:209], v[24:25], v[208:209]              // 000000008028: D3B240D0 1803A118
	v_pk_add_f32 v[208:209], v[26:27], v[208:209]              // 000000008030: D3B240D0 1803A11A
	v_pk_add_f32 v[208:209], v[28:29], v[208:209]              // 000000008038: D3B240D0 1803A11C
	v_pk_add_f32 v[208:209], v[30:31], v[208:209]              // 000000008040: D3B240D0 1803A11E
	v_pk_add_f32 v[208:209], v[32:33], v[208:209]              // 000000008048: D3B240D0 1803A120
	v_pk_add_f32 v[208:209], v[34:35], v[208:209]              // 000000008050: D3B240D0 1803A122
	v_add_f32_e32 v208, v209, v208                             // 000000008058: 03A1A1D1
	v_mul_f32_e32 v210, v204, v210                             // 00000000805C: 0BA5A5CC
	v_mov_b32_e32 v211, 0                                      // 000000008060: 7FA60280
	v_pk_add_f32 v[210:211], v[36:37], v[210:211]              // 000000008064: D3B240D2 1803A524
	v_pk_add_f32 v[210:211], v[38:39], v[210:211]              // 00000000806C: D3B240D2 1803A526
	v_pk_add_f32 v[210:211], v[40:41], v[210:211]              // 000000008074: D3B240D2 1803A528
	v_pk_add_f32 v[210:211], v[42:43], v[210:211]              // 00000000807C: D3B240D2 1803A52A
	v_add_f32_e32 v210, v211, v210                             // 000000008084: 03A5A5D3
	s_waitcnt lgkmcnt(0)                                       // 000000008088: BF8CC07F
	v_sub_f32_e32 v188, v188, v194                             // 00000000808C: 057985BC
	v_sub_f32_e32 v189, v189, v195                             // 000000008090: 057B87BD
	v_sub_f32_e32 v190, v190, v196                             // 000000008094: 057D89BE
	v_mul_f32_e32 v188, s46, v188                              // 000000008098: 0B79782E
	v_mul_f32_e32 v189, s46, v189                              // 00000000809C: 0B7B7A2E
	v_mul_f32_e32 v190, s46, v190                              // 0000000080A0: 0B7D7C2E
	v_exp_f32_e32 v188, v188                                   // 0000000080A4: 7F7841BC
	v_exp_f32_e32 v189, v189                                   // 0000000080A8: 7F7A41BD
	v_exp_f32_e32 v190, v190                                   // 0000000080AC: 7F7C41BE
	v_mul_f32_e32 v188, v156, v188                             // 0000000080B0: 0B79799C
	v_mul_f32_e32 v189, v156, v189                             // 0000000080B4: 0B7B7B9C
	v_mul_f32_e32 v190, v156, v190                             // 0000000080B8: 0B7D7D9C
	v_add_f32_e32 v188, 0x3089705f, v188                       // 0000000080BC: 037978FF 3089705F
	v_add_f32_e32 v189, 0x3089705f, v189                       // 0000000080C4: 037B7AFF 3089705F
	v_add_f32_e32 v190, 0x3089705f, v190                       // 0000000080CC: 037D7CFF 3089705F
	v_rcp_f32_e32 v188, v188                                   // 0000000080D4: 7F7845BC
	v_rcp_f32_e32 v189, v189                                   // 0000000080D8: 7F7A45BD
	v_rcp_f32_e32 v190, v190                                   // 0000000080DC: 7F7C45BE
	v_mul_f32_e32 v188, 0x43700000, v188                       // 0000000080E0: 0B7978FF 43700000
	v_mul_f32_e32 v189, 0x43700000, v189                       // 0000000080E8: 0B7B7AFF 43700000
	v_mul_f32_e32 v190, 0x43700000, v190                       // 0000000080F0: 0B7D7CFF 43700000
	v_mov_b32_e32 v192, v190                                   // 0000000080F8: 7F8003BE
	v_mov_b32_e32 v193, v190                                   // 0000000080FC: 7F8203BE
	v_mov_b32_e32 v190, v189                                   // 000000008100: 7F7C03BD
	v_mov_b32_e32 v191, v189                                   // 000000008104: 7F7E03BD
	v_mov_b32_e32 v189, v188                                   // 000000008108: 7F7A03BC
	v_pk_mul_f32 v[4:5], v[188:189], v[52:53]                  // 00000000810C: D3B14004 180269BC
	v_pk_mul_f32 v[6:7], v[188:189], v[54:55]                  // 000000008114: D3B14006 18026DBC
	v_pk_mul_f32 v[8:9], v[188:189], v[56:57]                  // 00000000811C: D3B14008 180271BC
	v_pk_mul_f32 v[10:11], v[188:189], v[58:59]                // 000000008124: D3B1400A 180275BC
	v_pk_mul_f32 v[12:13], v[188:189], v[60:61]                // 00000000812C: D3B1400C 180279BC
	v_pk_mul_f32 v[14:15], v[188:189], v[62:63]                // 000000008134: D3B1400E 18027DBC
	v_pk_mul_f32 v[16:17], v[188:189], v[64:65]                // 00000000813C: D3B14010 180281BC
	v_pk_mul_f32 v[18:19], v[188:189], v[66:67]                // 000000008144: D3B14012 180285BC
	v_pk_mul_f32 v[20:21], v[190:191], v[68:69]                // 00000000814C: D3B14014 180289BE
	v_pk_mul_f32 v[22:23], v[190:191], v[70:71]                // 000000008154: D3B14016 18028DBE
	v_pk_mul_f32 v[24:25], v[190:191], v[72:73]                // 00000000815C: D3B14018 180291BE
	v_pk_mul_f32 v[26:27], v[190:191], v[74:75]                // 000000008164: D3B1401A 180295BE
	v_pk_mul_f32 v[28:29], v[190:191], v[76:77]                // 00000000816C: D3B1401C 180299BE
	v_pk_mul_f32 v[30:31], v[190:191], v[78:79]                // 000000008174: D3B1401E 18029DBE
	v_pk_mul_f32 v[32:33], v[190:191], v[80:81]                // 00000000817C: D3B14020 1802A1BE
	v_pk_mul_f32 v[34:35], v[190:191], v[82:83]                // 000000008184: D3B14022 1802A5BE
	v_pk_mul_f32 v[36:37], v[192:193], v[84:85]                // 00000000818C: D3B14024 1802A9C0
	v_pk_mul_f32 v[38:39], v[192:193], v[86:87]                // 000000008194: D3B14026 1802ADC0
	v_pk_mul_f32 v[40:41], v[192:193], v[88:89]                // 00000000819C: D3B14028 1802B1C0
	v_pk_mul_f32 v[42:43], v[192:193], v[90:91]                // 0000000081A4: D3B1402A 1802B5C0
	v_cvt_pk_fp8_f32 v4, v4, v5                                // 0000000081AC: D2A20004 00020B04
	v_cvt_pk_fp8_f32 v4, v6, v7 op_sel:[0,0,1]                 // 0000000081B4: D2A24004 00020F06
	v_cvt_pk_fp8_f32 v5, v8, v9                                // 0000000081BC: D2A20005 00021308
	v_cvt_pk_fp8_f32 v5, v10, v11 op_sel:[0,0,1]               // 0000000081C4: D2A24005 0002170A
	v_cvt_pk_fp8_f32 v6, v12, v13                              // 0000000081CC: D2A20006 00021B0C
	v_cvt_pk_fp8_f32 v6, v14, v15 op_sel:[0,0,1]               // 0000000081D4: D2A24006 00021F0E
	v_cvt_pk_fp8_f32 v7, v16, v17                              // 0000000081DC: D2A20007 00022310
	v_cvt_pk_fp8_f32 v7, v18, v19 op_sel:[0,0,1]               // 0000000081E4: D2A24007 00022712
	v_cvt_pk_fp8_f32 v8, v20, v21                              // 0000000081EC: D2A20008 00022B14
	v_cvt_pk_fp8_f32 v8, v22, v23 op_sel:[0,0,1]               // 0000000081F4: D2A24008 00022F16
	v_cvt_pk_fp8_f32 v9, v24, v25                              // 0000000081FC: D2A20009 00023318
	v_cvt_pk_fp8_f32 v9, v26, v27 op_sel:[0,0,1]               // 000000008204: D2A24009 0002371A
	v_cvt_pk_fp8_f32 v10, v28, v29                             // 00000000820C: D2A2000A 00023B1C
	v_cvt_pk_fp8_f32 v10, v30, v31 op_sel:[0,0,1]              // 000000008214: D2A2400A 00023F1E
	v_cvt_pk_fp8_f32 v11, v32, v33                             // 00000000821C: D2A2000B 00024320
	v_cvt_pk_fp8_f32 v11, v34, v35 op_sel:[0,0,1]              // 000000008224: D2A2400B 00024722
	v_cvt_pk_fp8_f32 v12, v36, v37                             // 00000000822C: D2A2000C 00024B24
	v_cvt_pk_fp8_f32 v12, v38, v39 op_sel:[0,0,1]              // 000000008234: D2A2400C 00024F26
	v_cvt_pk_fp8_f32 v13, v40, v41                             // 00000000823C: D2A2000D 00025328
	v_cvt_pk_fp8_f32 v13, v42, v43 op_sel:[0,0,1]              // 000000008244: D2A2400D 0002572A
	v_mov_b32_dpp v14, v12 row_shl:8 row_mask:0xf bank_mask:0xf bound_ctrl:1// 00000000824C: 7E1C02FA FF09080C
	v_and_b32_e32 v12, v12, v224                               // 000000008254: 2619C10C
	v_mov_b32_dpp v15, v13 row_shl:8 row_mask:0xf bank_mask:0xf bound_ctrl:1// 000000008258: 7E1E02FA FF09080D
	v_and_b32_e32 v13, v13, v224                               // 000000008260: 261BC10D
	ds_write_b32 v254, v4 offset:8192                          // 000000008264: D81A2000 000004FE
	ds_write_b32 v254, v5 offset:9216                          // 00000000826C: D81A2400 000005FE
	ds_write_b32 v254, v6 offset:10240                         // 000000008274: D81A2800 000006FE
	ds_write_b32 v254, v7 offset:11264                         // 00000000827C: D81A2C00 000007FE
	ds_write_b32 v254, v8 offset:12288                         // 000000008284: D81A3000 000008FE
	ds_write_b32 v254, v9 offset:13312                         // 00000000828C: D81A3400 000009FE
	ds_write_b32 v254, v10 offset:14336                        // 000000008294: D81A3800 00000AFE
	ds_write_b32 v254, v11 offset:15360                        // 00000000829C: D81A3C00 00000BFE
	ds_write_b32 v254, v12 offset:16384                        // 0000000082A4: D81A4000 00000CFE
	ds_write_b32 v254, v13 offset:17408                        // 0000000082AC: D81A4400 00000DFE
	ds_write_b32 v254, v14 offset:18432                        // 0000000082B4: D81A4800 00000EFE
	ds_write_b32 v254, v15 offset:19456                        // 0000000082BC: D81A4C00 00000FFE
	v_rcp_f32_e32 v158, v188                                   // 0000000082C4: 7F3C45BC
	v_rcp_f32_e32 v160, v190                                   // 0000000082C8: 7F4045BE
	v_rcp_f32_e32 v162, v192                                   // 0000000082CC: 7F4445C0
	v_mov_b32_e32 v159, v158                                   // 0000000082D0: 7F3E039E
	v_mov_b32_e32 v161, v160                                   // 0000000082D4: 7F4203A0
	v_mov_b32_e32 v163, v162                                   // 0000000082D8: 7F4603A2
	v_pk_add_f32 v[124:125], v[124:125], v[100:101]            // 0000000082DC: D3B2407C 1802C97C
	v_pk_add_f32 v[126:127], v[126:127], v[102:103]            // 0000000082E4: D3B2407E 1802CD7E
	v_pk_add_f32 v[128:129], v[128:129], v[104:105]            // 0000000082EC: D3B24080 1802D180
	v_pk_add_f32 v[130:131], v[130:131], v[106:107]            // 0000000082F4: D3B24082 1802D582
	v_pk_add_f32 v[132:133], v[132:133], v[108:109]            // 0000000082FC: D3B24084 1802D984
	v_pk_add_f32 v[134:135], v[134:135], v[110:111]            // 000000008304: D3B24086 1802DD86
	v_pk_add_f32 v[136:137], v[136:137], v[112:113]            // 00000000830C: D3B24088 1802E188
	v_pk_add_f32 v[138:139], v[138:139], v[114:115]            // 000000008314: D3B2408A 1802E58A
	v_pk_add_f32 v[140:141], v[140:141], v[116:117]            // 00000000831C: D3B2408C 1802E98C
	v_pk_add_f32 v[142:143], v[142:143], v[118:119]            // 000000008324: D3B2408E 1802ED8E
	v_pk_add_f32 v[144:145], v[144:145], v[120:121]            // 00000000832C: D3B24090 1802F190
	v_pk_add_f32 v[146:147], v[146:147], v[122:123]            // 000000008334: D3B24092 1802F592
	s_waitcnt lgkmcnt(0)                                       // 00000000833C: BF8CC07F
	s_barrier                                                  // 000000008340: BF8A0000
	ds_read_b128 v[4:7], v255 offset:8192                      // 000000008344: D9FE2000 040000FF
	ds_read_b128 v[8:11], v255 offset:9216                     // 00000000834C: D9FE2400 080000FF
	ds_read_b128 v[12:15], v255 offset:10240                   // 000000008354: D9FE2800 0C0000FF
	ds_read_b128 v[16:19], v255 offset:11264                   // 00000000835C: D9FE2C00 100000FF
	ds_read_b128 v[20:23], v255 offset:12288                   // 000000008364: D9FE3000 140000FF
	ds_read_b128 v[24:27], v255 offset:13312                   // 00000000836C: D9FE3400 180000FF
	ds_read_b128 v[28:31], v255 offset:14336                   // 000000008374: D9FE3800 1C0000FF
	ds_read_b128 v[32:35], v255 offset:15360                   // 00000000837C: D9FE3C00 200000FF
	ds_read_b128 v[36:39], v255 offset:16384                   // 000000008384: D9FE4000 240000FF
	ds_read_b128 v[40:43], v255 offset:17408                   // 00000000838C: D9FE4400 280000FF
	ds_read_b128 v[44:47], v255 offset:18432                   // 000000008394: D9FE4800 2C0000FF
	ds_read_b128 v[48:51], v255 offset:19456                   // 00000000839C: D9FE4C00 300000FF
	s_waitcnt vmcnt(10)                                        // 0000000083A4: BF8C0F7A
	v_lshrrev_b32_e32 v1, 4, v0                                // 0000000083A8: 20020084
	v_lshlrev_b32_e32 v1, 4, v1                                // 0000000083AC: 24020284
	v_add_u32_e32 v168, s64, v1                                // 0000000083B0: 69500240
	v_add_u32_e32 v168, 4, v168                                // 0000000083B4: 69515084
	v_sub_i32 v168, v168, s62                                  // 0000000083B8: D29D00A8 00007DA8
	s_mov_b32 s54, 0                                           // 0000000083C0: BEB60080
	v_add_i32 v169, s54, v168                                  // 0000000083C4: D29C00A9 00035036
	v_cmp_lt_i32_e64 vcc, v169, 4                              // 0000000083CC: D0C1006A 000109A9
	v_min_u32_e32 v169, 4, v169                                // 0000000083D4: 1D535284
	v_lshlrev_b32_e32 v169, 3, v169                            // 0000000083D8: 25535283
	v_lshrrev_b32_e64 v170, v169, -1                           // 0000000083DC: D11000AA 000183A9
	v_accvgpr_read_b32 v171, a88                               // 0000000083E4: D3D840AB 18000158
	v_cndmask_b32_e32 v171, 0, v171, vcc                       // 0000000083EC: 01575680
	v_and_b32_e32 v171, v171, v170                             // 0000000083F0: 275755AB
	v_accvgpr_write_b32 a88, v171                              // 0000000083F4: D3D94058 180001AB
	v_accvgpr_read_b32 v171, a104                              // 0000000083FC: D3D840AB 18000168
	v_cndmask_b32_e32 v171, 0, v171, vcc                       // 000000008404: 01575680
	v_and_b32_e32 v171, v171, v170                             // 000000008408: 275755AB
	v_accvgpr_write_b32 a104, v171                             // 00000000840C: D3D94068 180001AB
	s_mov_b32 s54, 4                                           // 000000008414: BEB60084
	v_add_i32 v169, s54, v168                                  // 000000008418: D29C00A9 00035036
	v_cmp_lt_i32_e64 vcc, v169, 4                              // 000000008420: D0C1006A 000109A9
	v_min_u32_e32 v169, 4, v169                                // 000000008428: 1D535284
	v_lshlrev_b32_e32 v169, 3, v169                            // 00000000842C: 25535283
	v_lshrrev_b32_e64 v170, v169, -1                           // 000000008430: D11000AA 000183A9
	v_accvgpr_read_b32 v171, a89                               // 000000008438: D3D840AB 18000159
	v_cndmask_b32_e32 v171, 0, v171, vcc                       // 000000008440: 01575680
	v_and_b32_e32 v171, v171, v170                             // 000000008444: 275755AB
	v_accvgpr_write_b32 a89, v171                              // 000000008448: D3D94059 180001AB
	v_accvgpr_read_b32 v171, a105                              // 000000008450: D3D840AB 18000169
	v_cndmask_b32_e32 v171, 0, v171, vcc                       // 000000008458: 01575680
	v_and_b32_e32 v171, v171, v170                             // 00000000845C: 275755AB
	v_accvgpr_write_b32 a105, v171                             // 000000008460: D3D94069 180001AB
	s_mov_b32 s54, 8                                           // 000000008468: BEB60088
	v_add_i32 v169, s54, v168                                  // 00000000846C: D29C00A9 00035036
	v_cmp_lt_i32_e64 vcc, v169, 4                              // 000000008474: D0C1006A 000109A9
	v_min_u32_e32 v169, 4, v169                                // 00000000847C: 1D535284
	v_lshlrev_b32_e32 v169, 3, v169                            // 000000008480: 25535283
	v_lshrrev_b32_e64 v170, v169, -1                           // 000000008484: D11000AA 000183A9
	v_accvgpr_read_b32 v171, a90                               // 00000000848C: D3D840AB 1800015A
	v_cndmask_b32_e32 v171, 0, v171, vcc                       // 000000008494: 01575680
	v_and_b32_e32 v171, v171, v170                             // 000000008498: 275755AB
	v_accvgpr_write_b32 a90, v171                              // 00000000849C: D3D9405A 180001AB
	v_accvgpr_read_b32 v171, a106                              // 0000000084A4: D3D840AB 1800016A
	v_cndmask_b32_e32 v171, 0, v171, vcc                       // 0000000084AC: 01575680
	v_and_b32_e32 v171, v171, v170                             // 0000000084B0: 275755AB
	v_accvgpr_write_b32 a106, v171                             // 0000000084B4: D3D9406A 180001AB
	s_mov_b32 s54, 12                                          // 0000000084BC: BEB6008C
	v_add_i32 v169, s54, v168                                  // 0000000084C0: D29C00A9 00035036
	v_cmp_lt_i32_e64 vcc, v169, 4                              // 0000000084C8: D0C1006A 000109A9
	v_min_u32_e32 v169, 4, v169                                // 0000000084D0: 1D535284
	v_lshlrev_b32_e32 v169, 3, v169                            // 0000000084D4: 25535283
	v_lshrrev_b32_e64 v170, v169, -1                           // 0000000084D8: D11000AA 000183A9
	v_accvgpr_read_b32 v171, a91                               // 0000000084E0: D3D840AB 1800015B
	v_cndmask_b32_e32 v171, 0, v171, vcc                       // 0000000084E8: 01575680
	v_and_b32_e32 v171, v171, v170                             // 0000000084EC: 275755AB
	v_accvgpr_write_b32 a91, v171                              // 0000000084F0: D3D9405B 180001AB
	v_accvgpr_read_b32 v171, a107                              // 0000000084F8: D3D840AB 1800016B
	v_cndmask_b32_e32 v171, 0, v171, vcc                       // 000000008500: 01575680
	v_and_b32_e32 v171, v171, v170                             // 000000008504: 275755AB
	v_accvgpr_write_b32 a107, v171                             // 000000008508: D3D9406B 180001AB
	s_mov_b32 s54, 64                                          // 000000008510: BEB600C0
	v_add_i32 v169, s54, v168                                  // 000000008514: D29C00A9 00035036
	v_cmp_lt_i32_e64 vcc, v169, 4                              // 00000000851C: D0C1006A 000109A9
	v_min_u32_e32 v169, 4, v169                                // 000000008524: 1D535284
	v_lshlrev_b32_e32 v169, 3, v169                            // 000000008528: 25535283
	v_lshrrev_b32_e64 v170, v169, -1                           // 00000000852C: D11000AA 000183A9
	v_accvgpr_read_b32 v171, a92                               // 000000008534: D3D840AB 1800015C
	v_cndmask_b32_e32 v171, 0, v171, vcc                       // 00000000853C: 01575680
	v_and_b32_e32 v171, v171, v170                             // 000000008540: 275755AB
	v_accvgpr_write_b32 a92, v171                              // 000000008544: D3D9405C 180001AB
	v_accvgpr_read_b32 v171, a108                              // 00000000854C: D3D840AB 1800016C
	v_cndmask_b32_e32 v171, 0, v171, vcc                       // 000000008554: 01575680
	v_and_b32_e32 v171, v171, v170                             // 000000008558: 275755AB
	v_accvgpr_write_b32 a108, v171                             // 00000000855C: D3D9406C 180001AB
	s_mov_b32 s54, 0x44                                        // 000000008564: BEB600FF 00000044
	v_add_i32 v169, s54, v168                                  // 00000000856C: D29C00A9 00035036
	v_cmp_lt_i32_e64 vcc, v169, 4                              // 000000008574: D0C1006A 000109A9
	v_min_u32_e32 v169, 4, v169                                // 00000000857C: 1D535284
	v_lshlrev_b32_e32 v169, 3, v169                            // 000000008580: 25535283
	v_lshrrev_b32_e64 v170, v169, -1                           // 000000008584: D11000AA 000183A9
	v_accvgpr_read_b32 v171, a93                               // 00000000858C: D3D840AB 1800015D
	v_cndmask_b32_e32 v171, 0, v171, vcc                       // 000000008594: 01575680
	v_and_b32_e32 v171, v171, v170                             // 000000008598: 275755AB
	v_accvgpr_write_b32 a93, v171                              // 00000000859C: D3D9405D 180001AB
	v_accvgpr_read_b32 v171, a109                              // 0000000085A4: D3D840AB 1800016D
	v_cndmask_b32_e32 v171, 0, v171, vcc                       // 0000000085AC: 01575680
	v_and_b32_e32 v171, v171, v170                             // 0000000085B0: 275755AB
	v_accvgpr_write_b32 a109, v171                             // 0000000085B4: D3D9406D 180001AB
	s_mov_b32 s54, 0x48                                        // 0000000085BC: BEB600FF 00000048
	v_add_i32 v169, s54, v168                                  // 0000000085C4: D29C00A9 00035036
	v_cmp_lt_i32_e64 vcc, v169, 4                              // 0000000085CC: D0C1006A 000109A9
	v_min_u32_e32 v169, 4, v169                                // 0000000085D4: 1D535284
	v_lshlrev_b32_e32 v169, 3, v169                            // 0000000085D8: 25535283
	v_lshrrev_b32_e64 v170, v169, -1                           // 0000000085DC: D11000AA 000183A9
	v_accvgpr_read_b32 v171, a94                               // 0000000085E4: D3D840AB 1800015E
	v_cndmask_b32_e32 v171, 0, v171, vcc                       // 0000000085EC: 01575680
	v_and_b32_e32 v171, v171, v170                             // 0000000085F0: 275755AB
	v_accvgpr_write_b32 a94, v171                              // 0000000085F4: D3D9405E 180001AB
	v_accvgpr_read_b32 v171, a110                              // 0000000085FC: D3D840AB 1800016E
	v_cndmask_b32_e32 v171, 0, v171, vcc                       // 000000008604: 01575680
	v_and_b32_e32 v171, v171, v170                             // 000000008608: 275755AB
	v_accvgpr_write_b32 a110, v171                             // 00000000860C: D3D9406E 180001AB
	s_mov_b32 s54, 0x4c                                        // 000000008614: BEB600FF 0000004C
	v_add_i32 v169, s54, v168                                  // 00000000861C: D29C00A9 00035036
	v_cmp_lt_i32_e64 vcc, v169, 4                              // 000000008624: D0C1006A 000109A9
	v_min_u32_e32 v169, 4, v169                                // 00000000862C: 1D535284
	v_lshlrev_b32_e32 v169, 3, v169                            // 000000008630: 25535283
	v_lshrrev_b32_e64 v170, v169, -1                           // 000000008634: D11000AA 000183A9
	v_accvgpr_read_b32 v171, a95                               // 00000000863C: D3D840AB 1800015F
	v_cndmask_b32_e32 v171, 0, v171, vcc                       // 000000008644: 01575680
	v_and_b32_e32 v171, v171, v170                             // 000000008648: 275755AB
	v_accvgpr_write_b32 a95, v171                              // 00000000864C: D3D9405F 180001AB
	v_accvgpr_read_b32 v171, a111                              // 000000008654: D3D840AB 1800016F
	v_cndmask_b32_e32 v171, 0, v171, vcc                       // 00000000865C: 01575680
	v_and_b32_e32 v171, v171, v170                             // 000000008660: 275755AB
	v_accvgpr_write_b32 a111, v171                             // 000000008664: D3D9406F 180001AB
	s_mov_b32 s54, 0x80                                        // 00000000866C: BEB600FF 00000080
	v_add_i32 v169, s54, v168                                  // 000000008674: D29C00A9 00035036
	v_cmp_lt_i32_e64 vcc, v169, 4                              // 00000000867C: D0C1006A 000109A9
	v_min_u32_e32 v169, 4, v169                                // 000000008684: 1D535284
	v_lshlrev_b32_e32 v169, 3, v169                            // 000000008688: 25535283
	v_lshrrev_b32_e64 v170, v169, -1                           // 00000000868C: D11000AA 000183A9
	v_accvgpr_read_b32 v171, a96                               // 000000008694: D3D840AB 18000160
	v_cndmask_b32_e32 v171, 0, v171, vcc                       // 00000000869C: 01575680
	v_and_b32_e32 v171, v171, v170                             // 0000000086A0: 275755AB
	v_accvgpr_write_b32 a96, v171                              // 0000000086A4: D3D94060 180001AB
	v_accvgpr_read_b32 v171, a112                              // 0000000086AC: D3D840AB 18000170
	v_cndmask_b32_e32 v171, 0, v171, vcc                       // 0000000086B4: 01575680
	v_and_b32_e32 v171, v171, v170                             // 0000000086B8: 275755AB
	v_accvgpr_write_b32 a112, v171                             // 0000000086BC: D3D94070 180001AB
	s_mov_b32 s54, 0x84                                        // 0000000086C4: BEB600FF 00000084
	v_add_i32 v169, s54, v168                                  // 0000000086CC: D29C00A9 00035036
	v_cmp_lt_i32_e64 vcc, v169, 4                              // 0000000086D4: D0C1006A 000109A9
	v_min_u32_e32 v169, 4, v169                                // 0000000086DC: 1D535284
	v_lshlrev_b32_e32 v169, 3, v169                            // 0000000086E0: 25535283
	v_lshrrev_b32_e64 v170, v169, -1                           // 0000000086E4: D11000AA 000183A9
	v_accvgpr_read_b32 v171, a97                               // 0000000086EC: D3D840AB 18000161
	v_cndmask_b32_e32 v171, 0, v171, vcc                       // 0000000086F4: 01575680
	v_and_b32_e32 v171, v171, v170                             // 0000000086F8: 275755AB
	v_accvgpr_write_b32 a97, v171                              // 0000000086FC: D3D94061 180001AB
	v_accvgpr_read_b32 v171, a113                              // 000000008704: D3D840AB 18000171
	v_cndmask_b32_e32 v171, 0, v171, vcc                       // 00000000870C: 01575680
	v_and_b32_e32 v171, v171, v170                             // 000000008710: 275755AB
	v_accvgpr_write_b32 a113, v171                             // 000000008714: D3D94071 180001AB
	s_mov_b32 s54, 0x88                                        // 00000000871C: BEB600FF 00000088
	v_add_i32 v169, s54, v168                                  // 000000008724: D29C00A9 00035036
	v_cmp_lt_i32_e64 vcc, v169, 4                              // 00000000872C: D0C1006A 000109A9
	v_min_u32_e32 v169, 4, v169                                // 000000008734: 1D535284
	v_lshlrev_b32_e32 v169, 3, v169                            // 000000008738: 25535283
	v_lshrrev_b32_e64 v170, v169, -1                           // 00000000873C: D11000AA 000183A9
	v_accvgpr_read_b32 v171, a98                               // 000000008744: D3D840AB 18000162
	v_cndmask_b32_e32 v171, 0, v171, vcc                       // 00000000874C: 01575680
	v_and_b32_e32 v171, v171, v170                             // 000000008750: 275755AB
	v_accvgpr_write_b32 a98, v171                              // 000000008754: D3D94062 180001AB
	v_accvgpr_read_b32 v171, a114                              // 00000000875C: D3D840AB 18000172
	v_cndmask_b32_e32 v171, 0, v171, vcc                       // 000000008764: 01575680
	v_and_b32_e32 v171, v171, v170                             // 000000008768: 275755AB
	v_accvgpr_write_b32 a114, v171                             // 00000000876C: D3D94072 180001AB
	s_mov_b32 s54, 0x8c                                        // 000000008774: BEB600FF 0000008C
	v_add_i32 v169, s54, v168                                  // 00000000877C: D29C00A9 00035036
	v_cmp_lt_i32_e64 vcc, v169, 4                              // 000000008784: D0C1006A 000109A9
	v_min_u32_e32 v169, 4, v169                                // 00000000878C: 1D535284
	v_lshlrev_b32_e32 v169, 3, v169                            // 000000008790: 25535283
	v_lshrrev_b32_e64 v170, v169, -1                           // 000000008794: D11000AA 000183A9
	v_accvgpr_read_b32 v171, a99                               // 00000000879C: D3D840AB 18000163
	v_cndmask_b32_e32 v171, 0, v171, vcc                       // 0000000087A4: 01575680
	v_and_b32_e32 v171, v171, v170                             // 0000000087A8: 275755AB
	v_accvgpr_write_b32 a99, v171                              // 0000000087AC: D3D94063 180001AB
	v_accvgpr_read_b32 v171, a115                              // 0000000087B4: D3D840AB 18000173
	v_cndmask_b32_e32 v171, 0, v171, vcc                       // 0000000087BC: 01575680
	v_and_b32_e32 v171, v171, v170                             // 0000000087C0: 275755AB
	v_accvgpr_write_b32 a115, v171                             // 0000000087C4: D3D94073 180001AB
	s_mov_b32 s54, 0xc0                                        // 0000000087CC: BEB600FF 000000C0
	v_add_i32 v169, s54, v168                                  // 0000000087D4: D29C00A9 00035036
	v_cmp_lt_i32_e64 vcc, v169, 4                              // 0000000087DC: D0C1006A 000109A9
	v_min_u32_e32 v169, 4, v169                                // 0000000087E4: 1D535284
	v_lshlrev_b32_e32 v169, 3, v169                            // 0000000087E8: 25535283
	v_lshrrev_b32_e64 v170, v169, -1                           // 0000000087EC: D11000AA 000183A9
	v_accvgpr_read_b32 v171, a100                              // 0000000087F4: D3D840AB 18000164
	v_cndmask_b32_e32 v171, 0, v171, vcc                       // 0000000087FC: 01575680
	v_and_b32_e32 v171, v171, v170                             // 000000008800: 275755AB
	v_accvgpr_write_b32 a100, v171                             // 000000008804: D3D94064 180001AB
	v_accvgpr_read_b32 v171, a116                              // 00000000880C: D3D840AB 18000174
	v_cndmask_b32_e32 v171, 0, v171, vcc                       // 000000008814: 01575680
	v_and_b32_e32 v171, v171, v170                             // 000000008818: 275755AB
	v_accvgpr_write_b32 a116, v171                             // 00000000881C: D3D94074 180001AB
	s_mov_b32 s54, 0xc4                                        // 000000008824: BEB600FF 000000C4
	v_add_i32 v169, s54, v168                                  // 00000000882C: D29C00A9 00035036
	v_cmp_lt_i32_e64 vcc, v169, 4                              // 000000008834: D0C1006A 000109A9
	v_min_u32_e32 v169, 4, v169                                // 00000000883C: 1D535284
	v_lshlrev_b32_e32 v169, 3, v169                            // 000000008840: 25535283
	v_lshrrev_b32_e64 v170, v169, -1                           // 000000008844: D11000AA 000183A9
	v_accvgpr_read_b32 v171, a101                              // 00000000884C: D3D840AB 18000165
	v_cndmask_b32_e32 v171, 0, v171, vcc                       // 000000008854: 01575680
	v_and_b32_e32 v171, v171, v170                             // 000000008858: 275755AB
	v_accvgpr_write_b32 a101, v171                             // 00000000885C: D3D94065 180001AB
	v_accvgpr_read_b32 v171, a117                              // 000000008864: D3D840AB 18000175
	v_cndmask_b32_e32 v171, 0, v171, vcc                       // 00000000886C: 01575680
	v_and_b32_e32 v171, v171, v170                             // 000000008870: 275755AB
	v_accvgpr_write_b32 a117, v171                             // 000000008874: D3D94075 180001AB
	s_mov_b32 s54, 0xc8                                        // 00000000887C: BEB600FF 000000C8
	v_add_i32 v169, s54, v168                                  // 000000008884: D29C00A9 00035036
	v_cmp_lt_i32_e64 vcc, v169, 4                              // 00000000888C: D0C1006A 000109A9
	v_min_u32_e32 v169, 4, v169                                // 000000008894: 1D535284
	v_lshlrev_b32_e32 v169, 3, v169                            // 000000008898: 25535283
	v_lshrrev_b32_e64 v170, v169, -1                           // 00000000889C: D11000AA 000183A9
	v_accvgpr_read_b32 v171, a102                              // 0000000088A4: D3D840AB 18000166
	v_cndmask_b32_e32 v171, 0, v171, vcc                       // 0000000088AC: 01575680
	v_and_b32_e32 v171, v171, v170                             // 0000000088B0: 275755AB
	v_accvgpr_write_b32 a102, v171                             // 0000000088B4: D3D94066 180001AB
	v_accvgpr_read_b32 v171, a118                              // 0000000088BC: D3D840AB 18000176
	v_cndmask_b32_e32 v171, 0, v171, vcc                       // 0000000088C4: 01575680
	v_and_b32_e32 v171, v171, v170                             // 0000000088C8: 275755AB
	v_accvgpr_write_b32 a118, v171                             // 0000000088CC: D3D94076 180001AB
	s_mov_b32 s54, 0xcc                                        // 0000000088D4: BEB600FF 000000CC
	v_add_i32 v169, s54, v168                                  // 0000000088DC: D29C00A9 00035036
	v_cmp_lt_i32_e64 vcc, v169, 4                              // 0000000088E4: D0C1006A 000109A9
	v_min_u32_e32 v169, 4, v169                                // 0000000088EC: 1D535284
	v_lshlrev_b32_e32 v169, 3, v169                            // 0000000088F0: 25535283
	v_lshrrev_b32_e64 v170, v169, -1                           // 0000000088F4: D11000AA 000183A9
	v_accvgpr_read_b32 v171, a103                              // 0000000088FC: D3D840AB 18000167
	v_cndmask_b32_e32 v171, 0, v171, vcc                       // 000000008904: 01575680
	v_and_b32_e32 v171, v171, v170                             // 000000008908: 275755AB
	v_accvgpr_write_b32 a103, v171                             // 00000000890C: D3D94067 180001AB
	v_accvgpr_read_b32 v171, a119                              // 000000008914: D3D840AB 18000177
	v_cndmask_b32_e32 v171, 0, v171, vcc                       // 00000000891C: 01575680
	v_and_b32_e32 v171, v171, v170                             // 000000008920: 275755AB
	v_accvgpr_write_b32 a119, v171                             // 000000008924: D3D94077 180001AB
	s_waitcnt lgkmcnt(11)                                      // 00000000892C: BF8CCB7F
	v_mfma_f32_16x16x32_fp8_fp8 v[100:103], a[88:89], v[4:5], 0// 000000008930: D3F30064 0A020958
	v_mfma_f32_16x16x32_fp8_fp8 v[104:107], a[104:105], v[4:5], 0// 000000008938: D3F30068 0A020968
	v_mfma_f32_16x16x32_fp8_fp8 v[100:103], a[90:91], v[6:7], v[100:103]// 000000008940: D3F30064 0D920D5A
	buffer_load_dwordx4 a[120:123], v234, s[16:19], 0 offen    // 000000008948: E05C1000 808478EA
	v_mfma_f32_16x16x32_fp8_fp8 v[104:107], a[106:107], v[6:7], v[104:107]// 000000008950: D3F30068 0DA20D6A
	s_waitcnt lgkmcnt(10)                                      // 000000008958: BF8CCA7F
	v_mfma_f32_16x16x32_fp8_fp8 v[100:103], a[92:93], v[8:9], v[100:103]// 00000000895C: D3F30064 0D92115C
	v_mfma_f32_16x16x32_fp8_fp8 v[104:107], a[108:109], v[8:9], v[104:107]// 000000008964: D3F30068 0DA2116C
	v_mfma_f32_16x16x32_fp8_fp8 v[100:103], a[94:95], v[10:11], v[100:103]// 00000000896C: D3F30064 0D92155E
	buffer_load_dwordx4 a[124:127], v235, s[16:19], 0 offen    // 000000008974: E05C1000 80847CEB
	v_mfma_f32_16x16x32_fp8_fp8 v[104:107], a[110:111], v[10:11], v[104:107]// 00000000897C: D3F30068 0DA2156E
	s_waitcnt lgkmcnt(9)                                       // 000000008984: BF8CC97F
	v_mfma_f32_16x16x32_fp8_fp8 v[100:103], a[96:97], v[12:13], v[100:103]// 000000008988: D3F30064 0D921960
	v_mfma_f32_16x16x32_fp8_fp8 v[104:107], a[112:113], v[12:13], v[104:107]// 000000008990: D3F30068 0DA21970
	v_mfma_f32_16x16x32_fp8_fp8 v[100:103], a[98:99], v[14:15], v[100:103]// 000000008998: D3F30064 0D921D62
	buffer_load_dwordx4 a[128:131], v236, s[16:19], 0 offen    // 0000000089A0: E05C1000 808480EC
	v_mfma_f32_16x16x32_fp8_fp8 v[104:107], a[114:115], v[14:15], v[104:107]// 0000000089A8: D3F30068 0DA21D72
	s_waitcnt lgkmcnt(8)                                       // 0000000089B0: BF8CC87F
	v_mfma_f32_16x16x32_fp8_fp8 v[100:103], a[100:101], v[16:17], v[100:103]// 0000000089B4: D3F30064 0D922164
	v_mfma_f32_16x16x32_fp8_fp8 v[104:107], a[116:117], v[16:17], v[104:107]// 0000000089BC: D3F30068 0DA22174
	v_mfma_f32_16x16x32_fp8_fp8 v[100:103], a[102:103], v[18:19], v[100:103]// 0000000089C4: D3F30064 0D922566
	buffer_load_dwordx4 a[132:135], v237, s[16:19], 0 offen    // 0000000089CC: E05C1000 808484ED
	v_mfma_f32_16x16x32_fp8_fp8 v[104:107], a[118:119], v[18:19], v[104:107]// 0000000089D4: D3F30068 0DA22576
	s_waitcnt lgkmcnt(7)                                       // 0000000089DC: BF8CC77F
	v_mfma_f32_16x16x32_fp8_fp8 v[108:111], a[88:89], v[20:21], 0// 0000000089E0: D3F3006C 0A022958
	v_mfma_f32_16x16x32_fp8_fp8 v[112:115], a[104:105], v[20:21], 0// 0000000089E8: D3F30070 0A022968
	v_mfma_f32_16x16x32_fp8_fp8 v[108:111], a[90:91], v[22:23], v[108:111]// 0000000089F0: D3F3006C 0DB22D5A
	buffer_load_dwordx4 a[136:139], v234, s[16:19], 0 offen offset:1024// 0000000089F8: E05C1400 808488EA
	v_mfma_f32_16x16x32_fp8_fp8 v[112:115], a[106:107], v[22:23], v[112:115]// 000000008A00: D3F30070 0DC22D6A
	s_waitcnt lgkmcnt(6)                                       // 000000008A08: BF8CC67F
	v_mfma_f32_16x16x32_fp8_fp8 v[108:111], a[92:93], v[24:25], v[108:111]// 000000008A0C: D3F3006C 0DB2315C
	v_mfma_f32_16x16x32_fp8_fp8 v[112:115], a[108:109], v[24:25], v[112:115]// 000000008A14: D3F30070 0DC2316C
	v_mfma_f32_16x16x32_fp8_fp8 v[108:111], a[94:95], v[26:27], v[108:111]// 000000008A1C: D3F3006C 0DB2355E
	buffer_load_dwordx4 a[140:143], v235, s[16:19], 0 offen offset:1024// 000000008A24: E05C1400 80848CEB
	v_mfma_f32_16x16x32_fp8_fp8 v[112:115], a[110:111], v[26:27], v[112:115]// 000000008A2C: D3F30070 0DC2356E
	s_waitcnt lgkmcnt(5)                                       // 000000008A34: BF8CC57F
	v_mfma_f32_16x16x32_fp8_fp8 v[108:111], a[96:97], v[28:29], v[108:111]// 000000008A38: D3F3006C 0DB23960
	v_mfma_f32_16x16x32_fp8_fp8 v[112:115], a[112:113], v[28:29], v[112:115]// 000000008A40: D3F30070 0DC23970
	v_mfma_f32_16x16x32_fp8_fp8 v[108:111], a[98:99], v[30:31], v[108:111]// 000000008A48: D3F3006C 0DB23D62
	buffer_load_dwordx4 a[144:147], v236, s[16:19], 0 offen offset:1024// 000000008A50: E05C1400 808490EC
	v_mfma_f32_16x16x32_fp8_fp8 v[112:115], a[114:115], v[30:31], v[112:115]// 000000008A58: D3F30070 0DC23D72
	s_waitcnt lgkmcnt(4)                                       // 000000008A60: BF8CC47F
	v_mfma_f32_16x16x32_fp8_fp8 v[108:111], a[100:101], v[32:33], v[108:111]// 000000008A64: D3F3006C 0DB24164
	v_mfma_f32_16x16x32_fp8_fp8 v[112:115], a[116:117], v[32:33], v[112:115]// 000000008A6C: D3F30070 0DC24174
	v_mfma_f32_16x16x32_fp8_fp8 v[108:111], a[102:103], v[34:35], v[108:111]// 000000008A74: D3F3006C 0DB24566
	buffer_load_dwordx4 a[148:151], v237, s[16:19], 0 offen offset:1024// 000000008A7C: E05C1400 808494ED
	v_mfma_f32_16x16x32_fp8_fp8 v[112:115], a[118:119], v[34:35], v[112:115]// 000000008A84: D3F30070 0DC24576
	s_waitcnt lgkmcnt(3)                                       // 000000008A8C: BF8CC37F
	v_mfma_f32_16x16x32_fp8_fp8 v[116:119], a[88:89], v[36:37], 0// 000000008A90: D3F30074 0A024958
	v_mfma_f32_16x16x32_fp8_fp8 v[120:123], a[104:105], v[36:37], 0// 000000008A98: D3F30078 0A024968
	v_mfma_f32_16x16x32_fp8_fp8 v[116:119], a[90:91], v[38:39], v[116:119]// 000000008AA0: D3F30074 0DD24D5A
	v_mfma_f32_16x16x32_fp8_fp8 v[120:123], a[106:107], v[38:39], v[120:123]// 000000008AA8: D3F30078 0DE24D6A
	s_waitcnt lgkmcnt(2)                                       // 000000008AB0: BF8CC27F
	v_mfma_f32_16x16x32_fp8_fp8 v[116:119], a[92:93], v[40:41], v[116:119]// 000000008AB4: D3F30074 0DD2515C
	v_mfma_f32_16x16x32_fp8_fp8 v[120:123], a[108:109], v[40:41], v[120:123]// 000000008ABC: D3F30078 0DE2516C
	v_mfma_f32_16x16x32_fp8_fp8 v[116:119], a[94:95], v[42:43], v[116:119]// 000000008AC4: D3F30074 0DD2555E
	v_mfma_f32_16x16x32_fp8_fp8 v[120:123], a[110:111], v[42:43], v[120:123]// 000000008ACC: D3F30078 0DE2556E
	s_waitcnt lgkmcnt(1)                                       // 000000008AD4: BF8CC17F
	v_mfma_f32_16x16x32_fp8_fp8 v[116:119], a[96:97], v[44:45], v[116:119]// 000000008AD8: D3F30074 0DD25960
	v_mfma_f32_16x16x32_fp8_fp8 v[120:123], a[112:113], v[44:45], v[120:123]// 000000008AE0: D3F30078 0DE25970
	v_mfma_f32_16x16x32_fp8_fp8 v[116:119], a[98:99], v[46:47], v[116:119]// 000000008AE8: D3F30074 0DD25D62
	v_mfma_f32_16x16x32_fp8_fp8 v[120:123], a[114:115], v[46:47], v[120:123]// 000000008AF0: D3F30078 0DE25D72
	s_waitcnt lgkmcnt(0)                                       // 000000008AF8: BF8CC07F
	v_mfma_f32_16x16x32_fp8_fp8 v[116:119], a[100:101], v[48:49], v[116:119]// 000000008AFC: D3F30074 0DD26164
	v_mfma_f32_16x16x32_fp8_fp8 v[120:123], a[116:117], v[48:49], v[120:123]// 000000008B04: D3F30078 0DE26174
	v_mfma_f32_16x16x32_fp8_fp8 v[116:119], a[102:103], v[50:51], v[116:119]// 000000008B0C: D3F30074 0DD26566
	v_mfma_f32_16x16x32_fp8_fp8 v[120:123], a[118:119], v[50:51], v[120:123]// 000000008B14: D3F30078 0DE26576
	s_addk_i32 s64, 0x100                                      // 000000008B1C: B7400100
	s_branch label_1949                                        // 000000008B20: BF820000

0000000000008b24 <label_1949>:
	s_cmp_lt_i32 s64, s62                                      // 000000008B24: BF043E40
	s_cbranch_scc0 label_200A                                  // 000000008B28: BF8406BF
	s_waitcnt vmcnt(10)                                        // 000000008B2C: BF8C0F7A
	s_lshl_b32 s68, s76, 2                                     // 000000008B30: 8E44824C
	s_cmp_lt_u32 s76, s77                                      // 000000008B34: BF0A4D4C
	s_cselect_b32 s68, s68, 0                                  // 000000008B38: 85448044
	s_addk_i32 s76, 0x1                                        // 000000008B3C: B74C0001
	s_load_dword s59, s[42:43], s68                            // 000000008B40: C0000ED5 00000044
	s_waitcnt lgkmcnt(0)                                       // 000000008B48: BF8CC07F
	s_mul_i32 s69, s59, s50                                    // 000000008B4C: 9245323B
	s_mul_i32 s71, s59, s66                                    // 000000008B50: 9247423B
	s_mul_i32 s54, s78, s51                                    // 000000008B54: 9236334E
	s_add_u32 s69, s69, s54                                    // 000000008B58: 80453645
	s_mov_b32 s70, s69                                         // 000000008B5C: BEC60045
	s_mul_i32 s54, s78, 4                                      // 000000008B60: 9236844E
	s_add_u32 s71, s71, s54                                    // 000000008B64: 80473647
	s_add_u32 s12, s86, s69                                    // 000000008B68: 800C4556
	s_addc_u32 s13, s87, 0                                     // 000000008B6C: 820D8057
	s_add_u32 s16, s88, s70                                    // 000000008B70: 80104658
	s_addc_u32 s17, s89, 0                                     // 000000008B74: 82118059
	s_add_u32 s20, s90, s71                                    // 000000008B78: 8014475A
	s_addc_u32 s21, s91, 0                                     // 000000008B7C: 8215805B
	s_add_u32 s24, s92, s71                                    // 000000008B80: 8018475C
	s_addc_u32 s25, s93, 0                                     // 000000008B84: 8219805D
	v_mfma_f32_16x16x32_fp8_fp8 v[4:7], a[56:57], a[0:1], 0    // 000000008B88: D3F30004 1A020138
	v_mfma_f32_16x16x32_fp8_fp8 v[4:7], a[58:59], a[2:3], v[4:7]// 000000008B90: D3F30004 1C12053A
	v_mfma_f32_16x16x32_fp8_fp8 v[4:7], a[60:61], a[4:5], v[4:7]// 000000008B98: D3F30004 1C12093C
	buffer_load_dwordx4 a[24:27], v232, s[12:15], 0 offen      // 000000008BA0: E05C1000 808318E8
	v_mfma_f32_16x16x32_fp8_fp8 v[4:7], a[62:63], a[6:7], v[4:7]// 000000008BA8: D3F30004 1C120D3E
	v_mfma_f32_16x16x32_fp8_fp8 v[8:11], a[64:65], a[0:1], 0   // 000000008BB0: D3F30008 1A020140
	v_mfma_f32_16x16x32_fp8_fp8 v[8:11], a[66:67], a[2:3], v[8:11]// 000000008BB8: D3F30008 1C220542
	v_mfma_f32_16x16x32_fp8_fp8 v[8:11], a[68:69], a[4:5], v[8:11]// 000000008BC0: D3F30008 1C220944
	buffer_load_dwordx4 a[28:31], v233, s[12:15], 0 offen      // 000000008BC8: E05C1000 80831CE9
	v_mfma_f32_16x16x32_fp8_fp8 v[8:11], a[70:71], a[6:7], v[8:11]// 000000008BD0: D3F30008 1C220D46
	v_mfma_f32_16x16x32_fp8_fp8 v[12:15], a[72:73], a[0:1], 0  // 000000008BD8: D3F3000C 1A020148
	v_mfma_f32_16x16x32_fp8_fp8 v[12:15], a[74:75], a[2:3], v[12:15]// 000000008BE0: D3F3000C 1C32054A
	v_mfma_f32_16x16x32_fp8_fp8 v[12:15], a[76:77], a[4:5], v[12:15]// 000000008BE8: D3F3000C 1C32094C
	buffer_load_dwordx4 a[32:35], v232, s[12:15], 0 offen offset:1024// 000000008BF0: E05C1400 808320E8
	v_mfma_f32_16x16x32_fp8_fp8 v[12:15], a[78:79], a[6:7], v[12:15]// 000000008BF8: D3F3000C 1C320D4E
	v_mfma_f32_16x16x32_fp8_fp8 v[16:19], a[80:81], a[0:1], 0  // 000000008C00: D3F30010 1A020150
	v_mfma_f32_16x16x32_fp8_fp8 v[16:19], a[82:83], a[2:3], v[16:19]// 000000008C08: D3F30010 1C420552
	v_mfma_f32_16x16x32_fp8_fp8 v[16:19], a[84:85], a[4:5], v[16:19]// 000000008C10: D3F30010 1C420954
	buffer_load_dwordx4 a[36:39], v233, s[12:15], 0 offen offset:1024// 000000008C18: E05C1400 808324E9
	v_mfma_f32_16x16x32_fp8_fp8 v[16:19], a[86:87], a[6:7], v[16:19]// 000000008C20: D3F30010 1C420D56
	v_mfma_f32_16x16x32_fp8_fp8 v[20:23], a[56:57], a[8:9], 0  // 000000008C28: D3F30014 1A021138
	v_mfma_f32_16x16x32_fp8_fp8 v[20:23], a[58:59], a[10:11], v[20:23]// 000000008C30: D3F30014 1C52153A
	v_mfma_f32_16x16x32_fp8_fp8 v[20:23], a[60:61], a[12:13], v[20:23]// 000000008C38: D3F30014 1C52193C
	buffer_load_dwordx4 a[40:43], v232, s[12:15], 0 offen offset:2048// 000000008C40: E05C1800 808328E8
	v_mfma_f32_16x16x32_fp8_fp8 v[20:23], a[62:63], a[14:15], v[20:23]// 000000008C48: D3F30014 1C521D3E
	v_mfma_f32_16x16x32_fp8_fp8 v[24:27], a[64:65], a[8:9], 0  // 000000008C50: D3F30018 1A021140
	v_mfma_f32_16x16x32_fp8_fp8 v[24:27], a[66:67], a[10:11], v[24:27]// 000000008C58: D3F30018 1C621542
	v_mfma_f32_16x16x32_fp8_fp8 v[24:27], a[68:69], a[12:13], v[24:27]// 000000008C60: D3F30018 1C621944
	buffer_load_dwordx4 a[44:47], v233, s[12:15], 0 offen offset:2048// 000000008C68: E05C1800 80832CE9
	v_mfma_f32_16x16x32_fp8_fp8 v[24:27], a[70:71], a[14:15], v[24:27]// 000000008C70: D3F30018 1C621D46
	v_mfma_f32_16x16x32_fp8_fp8 v[28:31], a[72:73], a[8:9], 0  // 000000008C78: D3F3001C 1A021148
	v_mfma_f32_16x16x32_fp8_fp8 v[28:31], a[74:75], a[10:11], v[28:31]// 000000008C80: D3F3001C 1C72154A
	v_mfma_f32_16x16x32_fp8_fp8 v[28:31], a[76:77], a[12:13], v[28:31]// 000000008C88: D3F3001C 1C72194C
	buffer_load_dwordx4 a[48:51], v232, s[12:15], 0 offen offset:3072// 000000008C90: E05C1C00 808330E8
	v_mfma_f32_16x16x32_fp8_fp8 v[28:31], a[78:79], a[14:15], v[28:31]// 000000008C98: D3F3001C 1C721D4E
	v_mfma_f32_16x16x32_fp8_fp8 v[32:35], a[80:81], a[8:9], 0  // 000000008CA0: D3F30020 1A021150
	v_mfma_f32_16x16x32_fp8_fp8 v[32:35], a[82:83], a[10:11], v[32:35]// 000000008CA8: D3F30020 1C821552
	v_mfma_f32_16x16x32_fp8_fp8 v[32:35], a[84:85], a[12:13], v[32:35]// 000000008CB0: D3F30020 1C821954
	buffer_load_dwordx4 a[52:55], v233, s[12:15], 0 offen offset:3072// 000000008CB8: E05C1C00 808334E9
	v_mfma_f32_16x16x32_fp8_fp8 v[32:35], a[86:87], a[14:15], v[32:35]// 000000008CC0: D3F30020 1C821D56
	v_mfma_f32_16x16x32_fp8_fp8 v[36:39], a[56:57], a[16:17], 0// 000000008CC8: D3F30024 1A022138
	v_mfma_f32_16x16x32_fp8_fp8 v[36:39], a[58:59], a[18:19], v[36:39]// 000000008CD0: D3F30024 1C92253A
	v_mfma_f32_16x16x32_fp8_fp8 v[36:39], a[60:61], a[20:21], v[36:39]// 000000008CD8: D3F30024 1C92293C
	v_mfma_f32_16x16x32_fp8_fp8 v[36:39], a[62:63], a[22:23], v[36:39]// 000000008CE0: D3F30024 1C922D3E
	v_mfma_f32_16x16x32_fp8_fp8 v[40:43], a[64:65], a[16:17], 0// 000000008CE8: D3F30028 1A022140
	v_mfma_f32_16x16x32_fp8_fp8 v[40:43], a[66:67], a[18:19], v[40:43]// 000000008CF0: D3F30028 1CA22542
	v_mfma_f32_16x16x32_fp8_fp8 v[40:43], a[68:69], a[20:21], v[40:43]// 000000008CF8: D3F30028 1CA22944
	v_mfma_f32_16x16x32_fp8_fp8 v[40:43], a[70:71], a[22:23], v[40:43]// 000000008D00: D3F30028 1CA22D46
	v_mfma_f32_16x16x32_fp8_fp8 v[44:47], a[72:73], a[16:17], 0// 000000008D08: D3F3002C 1A022148
	v_mfma_f32_16x16x32_fp8_fp8 v[44:47], a[74:75], a[18:19], v[44:47]// 000000008D10: D3F3002C 1CB2254A
	v_mfma_f32_16x16x32_fp8_fp8 v[44:47], a[76:77], a[20:21], v[44:47]// 000000008D18: D3F3002C 1CB2294C
	v_mfma_f32_16x16x32_fp8_fp8 v[44:47], a[78:79], a[22:23], v[44:47]// 000000008D20: D3F3002C 1CB22D4E
	v_mfma_f32_16x16x32_fp8_fp8 v[48:51], a[80:81], a[16:17], 0// 000000008D28: D3F30030 1A022150
	v_mfma_f32_16x16x32_fp8_fp8 v[48:51], a[82:83], a[18:19], v[48:51]// 000000008D30: D3F30030 1CC22552
	v_mfma_f32_16x16x32_fp8_fp8 v[48:51], a[84:85], a[20:21], v[48:51]// 000000008D38: D3F30030 1CC22954
	v_mfma_f32_16x16x32_fp8_fp8 v[48:51], a[86:87], a[22:23], v[48:51]// 000000008D40: D3F30030 1CC22D56
	s_waitcnt vmcnt(16)                                        // 000000008D48: BF8C4F70
	v_or_b32_dpp v36, v44, v36 row_shr:8 row_mask:0xf bank_mask:0xf bound_ctrl:1// 000000008D4C: 284848FA FF09182C
	v_or_b32_dpp v37, v45, v37 row_shr:8 row_mask:0xf bank_mask:0xf bound_ctrl:1// 000000008D54: 284A4AFA FF09182D
	v_or_b32_dpp v38, v46, v38 row_shr:8 row_mask:0xf bank_mask:0xf bound_ctrl:1// 000000008D5C: 284C4CFA FF09182E
	v_or_b32_dpp v39, v47, v39 row_shr:8 row_mask:0xf bank_mask:0xf bound_ctrl:1// 000000008D64: 284E4EFA FF09182F
	v_or_b32_dpp v40, v48, v40 row_shr:8 row_mask:0xf bank_mask:0xf bound_ctrl:1// 000000008D6C: 285050FA FF091830
	v_or_b32_dpp v41, v49, v41 row_shr:8 row_mask:0xf bank_mask:0xf bound_ctrl:1// 000000008D74: 285252FA FF091831
	v_or_b32_dpp v42, v50, v42 row_shr:8 row_mask:0xf bank_mask:0xf bound_ctrl:1// 000000008D7C: 285454FA FF091832
	v_or_b32_dpp v43, v51, v43 row_shr:8 row_mask:0xf bank_mask:0xf bound_ctrl:1// 000000008D84: 285656FA FF091833
	v_pk_mul_f32 v[4:5], v[148:149], v[4:5]                    // 000000008D8C: D3B14004 18020994
	v_pk_mul_f32 v[6:7], v[148:149], v[6:7]                    // 000000008D94: D3B14006 18020D94
	v_pk_mul_f32 v[8:9], v[148:149], v[8:9]                    // 000000008D9C: D3B14008 18021194
	v_pk_mul_f32 v[10:11], v[148:149], v[10:11]                // 000000008DA4: D3B1400A 18021594
	v_pk_mul_f32 v[12:13], v[148:149], v[12:13]                // 000000008DAC: D3B1400C 18021994
	v_pk_mul_f32 v[14:15], v[148:149], v[14:15]                // 000000008DB4: D3B1400E 18021D94
	v_pk_mul_f32 v[16:17], v[148:149], v[16:17]                // 000000008DBC: D3B14010 18022194
	v_pk_mul_f32 v[18:19], v[148:149], v[18:19]                // 000000008DC4: D3B14012 18022594
	v_mul_f32_e32 v4, v155, v4                                 // 000000008DCC: 0A08099B
	v_mul_f32_e32 v5, v155, v5                                 // 000000008DD0: 0A0A0B9B
	v_mul_f32_e32 v6, v155, v6                                 // 000000008DD4: 0A0C0D9B
	v_mul_f32_e32 v7, v155, v7                                 // 000000008DD8: 0A0E0F9B
	v_mul_f32_e32 v8, v155, v8                                 // 000000008DDC: 0A10119B
	v_mul_f32_e32 v9, v155, v9                                 // 000000008DE0: 0A12139B
	v_mul_f32_e32 v10, v155, v10                               // 000000008DE4: 0A14159B
	v_mul_f32_e32 v11, v155, v11                               // 000000008DE8: 0A16179B
	v_mul_f32_e32 v12, v155, v12                               // 000000008DEC: 0A18199B
	v_mul_f32_e32 v13, v155, v13                               // 000000008DF0: 0A1A1B9B
	v_mul_f32_e32 v14, v155, v14                               // 000000008DF4: 0A1C1D9B
	v_mul_f32_e32 v15, v155, v15                               // 000000008DF8: 0A1E1F9B
	v_mul_f32_e32 v16, v155, v16                               // 000000008DFC: 0A20219B
	v_mul_f32_e32 v17, v155, v17                               // 000000008E00: 0A22239B
	v_mul_f32_e32 v18, v155, v18                               // 000000008E04: 0A24259B
	v_mul_f32_e32 v19, v155, v19                               // 000000008E08: 0A26279B
	v_pk_mul_f32 v[20:21], v[150:151], v[20:21]                // 000000008E0C: D3B14014 18022996
	v_pk_mul_f32 v[22:23], v[150:151], v[22:23]                // 000000008E14: D3B14016 18022D96
	v_pk_mul_f32 v[24:25], v[150:151], v[24:25]                // 000000008E1C: D3B14018 18023196
	v_pk_mul_f32 v[26:27], v[150:151], v[26:27]                // 000000008E24: D3B1401A 18023596
	v_pk_mul_f32 v[28:29], v[150:151], v[28:29]                // 000000008E2C: D3B1401C 18023996
	v_pk_mul_f32 v[30:31], v[150:151], v[30:31]                // 000000008E34: D3B1401E 18023D96
	v_pk_mul_f32 v[32:33], v[150:151], v[32:33]                // 000000008E3C: D3B14020 18024196
	v_pk_mul_f32 v[34:35], v[150:151], v[34:35]                // 000000008E44: D3B14022 18024596
	v_mul_f32_e32 v20, v155, v20                               // 000000008E4C: 0A28299B
	v_mul_f32_e32 v21, v155, v21                               // 000000008E50: 0A2A2B9B
	v_mul_f32_e32 v22, v155, v22                               // 000000008E54: 0A2C2D9B
	v_mul_f32_e32 v23, v155, v23                               // 000000008E58: 0A2E2F9B
	v_mul_f32_e32 v24, v155, v24                               // 000000008E5C: 0A30319B
	v_mul_f32_e32 v25, v155, v25                               // 000000008E60: 0A32339B
	v_mul_f32_e32 v26, v155, v26                               // 000000008E64: 0A34359B
	v_mul_f32_e32 v27, v155, v27                               // 000000008E68: 0A36379B
	v_mul_f32_e32 v28, v155, v28                               // 000000008E6C: 0A38399B
	v_mul_f32_e32 v29, v155, v29                               // 000000008E70: 0A3A3B9B
	v_mul_f32_e32 v30, v155, v30                               // 000000008E74: 0A3C3D9B
	v_mul_f32_e32 v31, v155, v31                               // 000000008E78: 0A3E3F9B
	v_mul_f32_e32 v32, v155, v32                               // 000000008E7C: 0A40419B
	v_mul_f32_e32 v33, v155, v33                               // 000000008E80: 0A42439B
	v_mul_f32_e32 v34, v155, v34                               // 000000008E84: 0A44459B
	v_mul_f32_e32 v35, v155, v35                               // 000000008E88: 0A46479B
	v_pk_mul_f32 v[36:37], v[152:153], v[36:37]                // 000000008E8C: D3B14024 18024998
	v_pk_mul_f32 v[38:39], v[152:153], v[38:39]                // 000000008E94: D3B14026 18024D98
	v_pk_mul_f32 v[40:41], v[152:153], v[40:41]                // 000000008E9C: D3B14028 18025198
	v_pk_mul_f32 v[42:43], v[152:153], v[42:43]                // 000000008EA4: D3B1402A 18025598
	v_mul_f32_e32 v36, v155, v36                               // 000000008EAC: 0A48499B
	v_mul_f32_e32 v37, v155, v37                               // 000000008EB0: 0A4A4B9B
	v_mul_f32_e32 v38, v155, v38                               // 000000008EB4: 0A4C4D9B
	v_mul_f32_e32 v39, v155, v39                               // 000000008EB8: 0A4E4F9B
	v_mul_f32_e32 v40, v155, v40                               // 000000008EBC: 0A50519B
	v_mul_f32_e32 v41, v155, v41                               // 000000008EC0: 0A52539B
	v_mul_f32_e32 v42, v155, v42                               // 000000008EC4: 0A54559B
	v_mul_f32_e32 v43, v155, v43                               // 000000008EC8: 0A56579B
	v_add_u32_e32 v168, s64, v222                              // 000000008ECC: 6951BC40
	v_add_u32_e32 v169, 0, v168                                // 000000008ED0: 69535080
	v_cmp_lt_u32_e64 s[98:99], v169, v219                      // 000000008ED4: D0C90062 0003B7A9
	s_nop 0                                                    // 000000008EDC: BF800000
	v_cndmask_b32_e64 v4, v225, v4, s[98:99]                   // 000000008EE0: D1000004 018A09E1
	v_add_u32_e32 v169, 1, v168                                // 000000008EE8: 69535081
	v_cmp_lt_u32_e64 s[98:99], v169, v219                      // 000000008EEC: D0C90062 0003B7A9
	s_nop 0                                                    // 000000008EF4: BF800000
	v_cndmask_b32_e64 v5, v225, v5, s[98:99]                   // 000000008EF8: D1000005 018A0BE1
	v_add_u32_e32 v169, 2, v168                                // 000000008F00: 69535082
	v_cmp_lt_u32_e64 s[98:99], v169, v219                      // 000000008F04: D0C90062 0003B7A9
	s_nop 0                                                    // 000000008F0C: BF800000
	v_cndmask_b32_e64 v6, v225, v6, s[98:99]                   // 000000008F10: D1000006 018A0DE1
	v_add_u32_e32 v169, 3, v168                                // 000000008F18: 69535083
	v_cmp_lt_u32_e64 s[98:99], v169, v219                      // 000000008F1C: D0C90062 0003B7A9
	s_nop 0                                                    // 000000008F24: BF800000
	v_cndmask_b32_e64 v7, v225, v7, s[98:99]                   // 000000008F28: D1000007 018A0FE1
	v_add_u32_e32 v169, 64, v168                               // 000000008F30: 695350C0
	v_cmp_lt_u32_e64 s[98:99], v169, v219                      // 000000008F34: D0C90062 0003B7A9
	s_nop 0                                                    // 000000008F3C: BF800000
	v_cndmask_b32_e64 v8, v225, v8, s[98:99]                   // 000000008F40: D1000008 018A11E1
	v_add_u32_e32 v169, 0x41, v168                             // 000000008F48: 695350FF 00000041
	v_cmp_lt_u32_e64 s[98:99], v169, v219                      // 000000008F50: D0C90062 0003B7A9
	s_nop 0                                                    // 000000008F58: BF800000
	v_cndmask_b32_e64 v9, v225, v9, s[98:99]                   // 000000008F5C: D1000009 018A13E1
	v_add_u32_e32 v169, 0x42, v168                             // 000000008F64: 695350FF 00000042
	v_cmp_lt_u32_e64 s[98:99], v169, v219                      // 000000008F6C: D0C90062 0003B7A9
	s_nop 0                                                    // 000000008F74: BF800000
	v_cndmask_b32_e64 v10, v225, v10, s[98:99]                 // 000000008F78: D100000A 018A15E1
	v_add_u32_e32 v169, 0x43, v168                             // 000000008F80: 695350FF 00000043
	v_cmp_lt_u32_e64 s[98:99], v169, v219                      // 000000008F88: D0C90062 0003B7A9
	s_nop 0                                                    // 000000008F90: BF800000
	v_cndmask_b32_e64 v11, v225, v11, s[98:99]                 // 000000008F94: D100000B 018A17E1
	v_add_u32_e32 v169, 0x80, v168                             // 000000008F9C: 695350FF 00000080
	v_cmp_lt_u32_e64 s[98:99], v169, v219                      // 000000008FA4: D0C90062 0003B7A9
	s_nop 0                                                    // 000000008FAC: BF800000
	v_cndmask_b32_e64 v12, v225, v12, s[98:99]                 // 000000008FB0: D100000C 018A19E1
	v_add_u32_e32 v169, 0x81, v168                             // 000000008FB8: 695350FF 00000081
	v_cmp_lt_u32_e64 s[98:99], v169, v219                      // 000000008FC0: D0C90062 0003B7A9
	s_nop 0                                                    // 000000008FC8: BF800000
	v_cndmask_b32_e64 v13, v225, v13, s[98:99]                 // 000000008FCC: D100000D 018A1BE1
	v_add_u32_e32 v169, 0x82, v168                             // 000000008FD4: 695350FF 00000082
	v_cmp_lt_u32_e64 s[98:99], v169, v219                      // 000000008FDC: D0C90062 0003B7A9
	s_nop 0                                                    // 000000008FE4: BF800000
	v_cndmask_b32_e64 v14, v225, v14, s[98:99]                 // 000000008FE8: D100000E 018A1DE1
	v_add_u32_e32 v169, 0x83, v168                             // 000000008FF0: 695350FF 00000083
	v_cmp_lt_u32_e64 s[98:99], v169, v219                      // 000000008FF8: D0C90062 0003B7A9
	s_nop 0                                                    // 000000009000: BF800000
	v_cndmask_b32_e64 v15, v225, v15, s[98:99]                 // 000000009004: D100000F 018A1FE1
	v_add_u32_e32 v169, 0xc0, v168                             // 00000000900C: 695350FF 000000C0
	v_cmp_lt_u32_e64 s[98:99], v169, v219                      // 000000009014: D0C90062 0003B7A9
	s_nop 0                                                    // 00000000901C: BF800000
	v_cndmask_b32_e64 v16, v225, v16, s[98:99]                 // 000000009020: D1000010 018A21E1
	v_add_u32_e32 v169, 0xc1, v168                             // 000000009028: 695350FF 000000C1
	v_cmp_lt_u32_e64 s[98:99], v169, v219                      // 000000009030: D0C90062 0003B7A9
	s_nop 0                                                    // 000000009038: BF800000
	v_cndmask_b32_e64 v17, v225, v17, s[98:99]                 // 00000000903C: D1000011 018A23E1
	v_add_u32_e32 v169, 0xc2, v168                             // 000000009044: 695350FF 000000C2
	v_cmp_lt_u32_e64 s[98:99], v169, v219                      // 00000000904C: D0C90062 0003B7A9
	s_nop 0                                                    // 000000009054: BF800000
	v_cndmask_b32_e64 v18, v225, v18, s[98:99]                 // 000000009058: D1000012 018A25E1
	v_add_u32_e32 v169, 0xc3, v168                             // 000000009060: 695350FF 000000C3
	v_cmp_lt_u32_e64 s[98:99], v169, v219                      // 000000009068: D0C90062 0003B7A9
	s_nop 0                                                    // 000000009070: BF800000
	v_cndmask_b32_e64 v19, v225, v19, s[98:99]                 // 000000009074: D1000013 018A27E1
	v_add_u32_e32 v169, 0, v168                                // 00000000907C: 69535080
	v_cmp_lt_u32_e64 s[98:99], v169, v220                      // 000000009080: D0C90062 0003B9A9
	s_nop 0                                                    // 000000009088: BF800000
	v_cndmask_b32_e64 v20, v225, v20, s[98:99]                 // 00000000908C: D1000014 018A29E1
	v_add_u32_e32 v169, 1, v168                                // 000000009094: 69535081
	v_cmp_lt_u32_e64 s[98:99], v169, v220                      // 000000009098: D0C90062 0003B9A9
	s_nop 0                                                    // 0000000090A0: BF800000
	v_cndmask_b32_e64 v21, v225, v21, s[98:99]                 // 0000000090A4: D1000015 018A2BE1
	v_add_u32_e32 v169, 2, v168                                // 0000000090AC: 69535082
	v_cmp_lt_u32_e64 s[98:99], v169, v220                      // 0000000090B0: D0C90062 0003B9A9
	s_nop 0                                                    // 0000000090B8: BF800000
	v_cndmask_b32_e64 v22, v225, v22, s[98:99]                 // 0000000090BC: D1000016 018A2DE1
	v_add_u32_e32 v169, 3, v168                                // 0000000090C4: 69535083
	v_cmp_lt_u32_e64 s[98:99], v169, v220                      // 0000000090C8: D0C90062 0003B9A9
	s_nop 0                                                    // 0000000090D0: BF800000
	v_cndmask_b32_e64 v23, v225, v23, s[98:99]                 // 0000000090D4: D1000017 018A2FE1
	v_add_u32_e32 v169, 64, v168                               // 0000000090DC: 695350C0
	v_cmp_lt_u32_e64 s[98:99], v169, v220                      // 0000000090E0: D0C90062 0003B9A9
	s_nop 0                                                    // 0000000090E8: BF800000
	v_cndmask_b32_e64 v24, v225, v24, s[98:99]                 // 0000000090EC: D1000018 018A31E1
	v_add_u32_e32 v169, 0x41, v168                             // 0000000090F4: 695350FF 00000041
	v_cmp_lt_u32_e64 s[98:99], v169, v220                      // 0000000090FC: D0C90062 0003B9A9
	s_nop 0                                                    // 000000009104: BF800000
	v_cndmask_b32_e64 v25, v225, v25, s[98:99]                 // 000000009108: D1000019 018A33E1
	v_add_u32_e32 v169, 0x42, v168                             // 000000009110: 695350FF 00000042
	v_cmp_lt_u32_e64 s[98:99], v169, v220                      // 000000009118: D0C90062 0003B9A9
	s_nop 0                                                    // 000000009120: BF800000
	v_cndmask_b32_e64 v26, v225, v26, s[98:99]                 // 000000009124: D100001A 018A35E1
	v_add_u32_e32 v169, 0x43, v168                             // 00000000912C: 695350FF 00000043
	v_cmp_lt_u32_e64 s[98:99], v169, v220                      // 000000009134: D0C90062 0003B9A9
	s_nop 0                                                    // 00000000913C: BF800000
	v_cndmask_b32_e64 v27, v225, v27, s[98:99]                 // 000000009140: D100001B 018A37E1
	v_add_u32_e32 v169, 0x80, v168                             // 000000009148: 695350FF 00000080
	v_cmp_lt_u32_e64 s[98:99], v169, v220                      // 000000009150: D0C90062 0003B9A9
	s_nop 0                                                    // 000000009158: BF800000
	v_cndmask_b32_e64 v28, v225, v28, s[98:99]                 // 00000000915C: D100001C 018A39E1
	v_add_u32_e32 v169, 0x81, v168                             // 000000009164: 695350FF 00000081
	v_cmp_lt_u32_e64 s[98:99], v169, v220                      // 00000000916C: D0C90062 0003B9A9
	s_nop 0                                                    // 000000009174: BF800000
	v_cndmask_b32_e64 v29, v225, v29, s[98:99]                 // 000000009178: D100001D 018A3BE1
	v_add_u32_e32 v169, 0x82, v168                             // 000000009180: 695350FF 00000082
	v_cmp_lt_u32_e64 s[98:99], v169, v220                      // 000000009188: D0C90062 0003B9A9
	s_nop 0                                                    // 000000009190: BF800000
	v_cndmask_b32_e64 v30, v225, v30, s[98:99]                 // 000000009194: D100001E 018A3DE1
	v_add_u32_e32 v169, 0x83, v168                             // 00000000919C: 695350FF 00000083
	v_cmp_lt_u32_e64 s[98:99], v169, v220                      // 0000000091A4: D0C90062 0003B9A9
	s_nop 0                                                    // 0000000091AC: BF800000
	v_cndmask_b32_e64 v31, v225, v31, s[98:99]                 // 0000000091B0: D100001F 018A3FE1
	v_add_u32_e32 v169, 0xc0, v168                             // 0000000091B8: 695350FF 000000C0
	v_cmp_lt_u32_e64 s[98:99], v169, v220                      // 0000000091C0: D0C90062 0003B9A9
	s_nop 0                                                    // 0000000091C8: BF800000
	v_cndmask_b32_e64 v32, v225, v32, s[98:99]                 // 0000000091CC: D1000020 018A41E1
	v_add_u32_e32 v169, 0xc1, v168                             // 0000000091D4: 695350FF 000000C1
	v_cmp_lt_u32_e64 s[98:99], v169, v220                      // 0000000091DC: D0C90062 0003B9A9
	s_nop 0                                                    // 0000000091E4: BF800000
	v_cndmask_b32_e64 v33, v225, v33, s[98:99]                 // 0000000091E8: D1000021 018A43E1
	v_add_u32_e32 v169, 0xc2, v168                             // 0000000091F0: 695350FF 000000C2
	v_cmp_lt_u32_e64 s[98:99], v169, v220                      // 0000000091F8: D0C90062 0003B9A9
	s_nop 0                                                    // 000000009200: BF800000
	v_cndmask_b32_e64 v34, v225, v34, s[98:99]                 // 000000009204: D1000022 018A45E1
	v_add_u32_e32 v169, 0xc3, v168                             // 00000000920C: 695350FF 000000C3
	v_cmp_lt_u32_e64 s[98:99], v169, v220                      // 000000009214: D0C90062 0003B9A9
	s_nop 0                                                    // 00000000921C: BF800000
	v_cndmask_b32_e64 v35, v225, v35, s[98:99]                 // 000000009220: D1000023 018A47E1
	v_add_u32_e32 v168, s64, v223                              // 000000009228: 6951BE40
	v_add_u32_e32 v169, 0, v168                                // 00000000922C: 69535080
	v_cmp_lt_u32_e64 s[98:99], v169, v221                      // 000000009230: D0C90062 0003BBA9
	s_nop 0                                                    // 000000009238: BF800000
	v_cndmask_b32_e64 v36, v225, v36, s[98:99]                 // 00000000923C: D1000024 018A49E1
	v_add_u32_e32 v169, 1, v168                                // 000000009244: 69535081
	v_cmp_lt_u32_e64 s[98:99], v169, v221                      // 000000009248: D0C90062 0003BBA9
	s_nop 0                                                    // 000000009250: BF800000
	v_cndmask_b32_e64 v37, v225, v37, s[98:99]                 // 000000009254: D1000025 018A4BE1
	v_add_u32_e32 v169, 2, v168                                // 00000000925C: 69535082
	v_cmp_lt_u32_e64 s[98:99], v169, v221                      // 000000009260: D0C90062 0003BBA9
	s_nop 0                                                    // 000000009268: BF800000
	v_cndmask_b32_e64 v38, v225, v38, s[98:99]                 // 00000000926C: D1000026 018A4DE1
	v_add_u32_e32 v169, 3, v168                                // 000000009274: 69535083
	v_cmp_lt_u32_e64 s[98:99], v169, v221                      // 000000009278: D0C90062 0003BBA9
	s_nop 0                                                    // 000000009280: BF800000
	v_cndmask_b32_e64 v39, v225, v39, s[98:99]                 // 000000009284: D1000027 018A4FE1
	v_add_u32_e32 v169, 64, v168                               // 00000000928C: 695350C0
	v_cmp_lt_u32_e64 s[98:99], v169, v221                      // 000000009290: D0C90062 0003BBA9
	s_nop 0                                                    // 000000009298: BF800000
	v_cndmask_b32_e64 v40, v225, v40, s[98:99]                 // 00000000929C: D1000028 018A51E1
	v_add_u32_e32 v169, 0x41, v168                             // 0000000092A4: 695350FF 00000041
	v_cmp_lt_u32_e64 s[98:99], v169, v221                      // 0000000092AC: D0C90062 0003BBA9
	s_nop 0                                                    // 0000000092B4: BF800000
	v_cndmask_b32_e64 v41, v225, v41, s[98:99]                 // 0000000092B8: D1000029 018A53E1
	v_add_u32_e32 v169, 0x42, v168                             // 0000000092C0: 695350FF 00000042
	v_cmp_lt_u32_e64 s[98:99], v169, v221                      // 0000000092C8: D0C90062 0003BBA9
	s_nop 0                                                    // 0000000092D0: BF800000
	v_cndmask_b32_e64 v42, v225, v42, s[98:99]                 // 0000000092D4: D100002A 018A55E1
	v_add_u32_e32 v169, 0x43, v168                             // 0000000092DC: 695350FF 00000043
	v_cmp_lt_u32_e64 s[98:99], v169, v221                      // 0000000092E4: D0C90062 0003BBA9
	s_nop 0                                                    // 0000000092EC: BF800000
	v_cndmask_b32_e64 v43, v225, v43, s[98:99]                 // 0000000092F0: D100002B 018A57E1
	v_mov_b32_e32 v190, v36                                    // 0000000092F8: 7F7C0324
	v_max3_f32 v190, v36, v37, v190                            // 0000000092FC: D1D300BE 06FA4B24
	v_max3_f32 v190, v38, v39, v190                            // 000000009304: D1D300BE 06FA4F26
	v_max3_f32 v190, v40, v41, v190                            // 00000000930C: D1D300BE 06FA5328
	v_max3_f32 v190, v42, v43, v190                            // 000000009314: D1D300BE 06FA572A
	v_mov_b32_e32 v189, v20                                    // 00000000931C: 7F7A0314
	v_max3_f32 v189, v20, v21, v189                            // 000000009320: D1D300BD 06F62B14
	v_max3_f32 v189, v22, v23, v189                            // 000000009328: D1D300BD 06F62F16
	v_max3_f32 v189, v24, v25, v189                            // 000000009330: D1D300BD 06F63318
	v_max3_f32 v189, v26, v27, v189                            // 000000009338: D1D300BD 06F6371A
	v_max3_f32 v189, v28, v29, v189                            // 000000009340: D1D300BD 06F63B1C
	v_max3_f32 v189, v30, v31, v189                            // 000000009348: D1D300BD 06F63F1E
	v_max3_f32 v189, v32, v33, v189                            // 000000009350: D1D300BD 06F64320
	v_max3_f32 v189, v34, v35, v189                            // 000000009358: D1D300BD 06F64722
	v_mov_b32_e32 v188, v4                                     // 000000009360: 7F780304
	v_max3_f32 v188, v4, v5, v188                              // 000000009364: D1D300BC 06F20B04
	v_max3_f32 v188, v6, v7, v188                              // 00000000936C: D1D300BC 06F20F06
	v_max3_f32 v188, v8, v9, v188                              // 000000009374: D1D300BC 06F21308
	v_max3_f32 v188, v10, v11, v188                            // 00000000937C: D1D300BC 06F2170A
	v_max3_f32 v188, v12, v13, v188                            // 000000009384: D1D300BC 06F21B0C
	v_max3_f32 v188, v14, v15, v188                            // 00000000938C: D1D300BC 06F21F0E
	v_max3_f32 v188, v16, v17, v188                            // 000000009394: D1D300BC 06F22310
	v_max3_f32 v188, v18, v19, v188                            // 00000000939C: D1D300BC 06F22712
	v_max_f32_dpp v190, v190, v190 row_ror:8 row_mask:0xf bank_mask:0xf// 0000000093A4: 177D7CFA FF0128BE
	ds_bpermute_b32 v172, v212, v188                           // 0000000093AC: D87E0000 AC00BCD4
	ds_bpermute_b32 v173, v213, v188                           // 0000000093B4: D87E0000 AD00BCD5
	ds_bpermute_b32 v174, v214, v188                           // 0000000093BC: D87E0000 AE00BCD6
	ds_bpermute_b32 v175, v212, v189                           // 0000000093C4: D87E0000 AF00BDD4
	ds_bpermute_b32 v176, v213, v189                           // 0000000093CC: D87E0000 B000BDD5
	ds_bpermute_b32 v177, v214, v189                           // 0000000093D4: D87E0000 B100BDD6
	ds_bpermute_b32 v178, v212, v190                           // 0000000093DC: D87E0000 B200BED4
	ds_bpermute_b32 v179, v213, v190                           // 0000000093E4: D87E0000 B300BED5
	ds_bpermute_b32 v180, v214, v190                           // 0000000093EC: D87E0000 B400BED6
	v_pk_mul_f32 v[124:125], v[200:201], v[124:125]            // 0000000093F4: D3B1407C 1802F9C8
	v_pk_mul_f32 v[126:127], v[200:201], v[126:127]            // 0000000093FC: D3B1407E 1802FDC8
	v_pk_mul_f32 v[128:129], v[200:201], v[128:129]            // 000000009404: D3B14080 180301C8
	v_pk_mul_f32 v[130:131], v[200:201], v[130:131]            // 00000000940C: D3B14082 180305C8
	v_pk_mul_f32 v[132:133], v[202:203], v[132:133]            // 000000009414: D3B14084 180309CA
	v_pk_mul_f32 v[134:135], v[202:203], v[134:135]            // 00000000941C: D3B14086 18030DCA
	v_pk_mul_f32 v[136:137], v[202:203], v[136:137]            // 000000009424: D3B14088 180311CA
	v_pk_mul_f32 v[138:139], v[202:203], v[138:139]            // 00000000942C: D3B1408A 180315CA
	v_pk_mul_f32 v[140:141], v[204:205], v[140:141]            // 000000009434: D3B1408C 180319CC
	v_pk_mul_f32 v[142:143], v[204:205], v[142:143]            // 00000000943C: D3B1408E 18031DCC
	v_pk_mul_f32 v[144:145], v[204:205], v[144:145]            // 000000009444: D3B14090 180321CC
	v_pk_mul_f32 v[146:147], v[204:205], v[146:147]            // 00000000944C: D3B14092 180325CC
	s_waitcnt lgkmcnt(6)                                       // 000000009454: BF8CC67F
	v_max3_f32 v188, v172, v173, v188                          // 000000009458: D1D300BC 06F35BAC
	v_max_f32_e32 v188, v174, v188                             // 000000009460: 177979AE
	s_waitcnt lgkmcnt(3)                                       // 000000009464: BF8CC37F
	v_max3_f32 v189, v175, v176, v189                          // 000000009468: D1D300BD 06F761AF
	v_max_f32_e32 v189, v177, v189                             // 000000009470: 177B7BB1
	s_waitcnt lgkmcnt(0)                                       // 000000009474: BF8CC07F
	v_max3_f32 v190, v178, v179, v190                          // 000000009478: D1D300BE 06FB67B2
	v_max_f32_e32 v190, v180, v190                             // 000000009480: 177D7DB4
	ds_write_b128 v252, v[188:191]                             // 000000009484: D9BE0000 0000BCFC
	s_waitcnt lgkmcnt(0)                                       // 00000000948C: BF8CC07F
	s_barrier                                                  // 000000009490: BF8A0000
	ds_read_b128 v[172:175], v253                              // 000000009494: D9FE0000 AC0000FD
	ds_read_b128 v[176:179], v253 offset:256                   // 00000000949C: D9FE0100 B00000FD
	ds_read_b128 v[180:183], v253 offset:512                   // 0000000094A4: D9FE0200 B40000FD
	ds_read_b128 v[184:187], v253 offset:768                   // 0000000094AC: D9FE0300 B80000FD
	v_pk_mul_f32 v[100:101], v[158:159], v[100:101]            // 0000000094B4: D3B14064 1802C99E
	v_pk_mul_f32 v[102:103], v[158:159], v[102:103]            // 0000000094BC: D3B14066 1802CD9E
	v_pk_mul_f32 v[104:105], v[158:159], v[104:105]            // 0000000094C4: D3B14068 1802D19E
	v_pk_mul_f32 v[106:107], v[158:159], v[106:107]            // 0000000094CC: D3B1406A 1802D59E
	v_pk_mul_f32 v[108:109], v[160:161], v[108:109]            // 0000000094D4: D3B1406C 1802D9A0
	v_pk_mul_f32 v[110:111], v[160:161], v[110:111]            // 0000000094DC: D3B1406E 1802DDA0
	v_pk_mul_f32 v[112:113], v[160:161], v[112:113]            // 0000000094E4: D3B14070 1802E1A0
	v_pk_mul_f32 v[114:115], v[160:161], v[114:115]            // 0000000094EC: D3B14072 1802E5A0
	v_pk_mul_f32 v[116:117], v[162:163], v[116:117]            // 0000000094F4: D3B14074 1802E9A2
	v_pk_mul_f32 v[118:119], v[162:163], v[118:119]            // 0000000094FC: D3B14076 1802EDA2
	v_pk_mul_f32 v[120:121], v[162:163], v[120:121]            // 000000009504: D3B14078 1802F1A2
	v_pk_mul_f32 v[122:123], v[162:163], v[122:123]            // 00000000950C: D3B1407A 1802F5A2
	s_waitcnt lgkmcnt(0)                                       // 000000009514: BF8CC07F
	v_max3_f32 v188, v172, v176, v188                          // 000000009518: D1D300BC 06F361AC
	v_max3_f32 v189, v173, v177, v189                          // 000000009520: D1D300BD 06F763AD
	v_max3_f32 v190, v174, v178, v190                          // 000000009528: D1D300BE 06FB65AE
	v_max3_f32 v188, v180, v184, v188                          // 000000009530: D1D300BC 06F371B4
	v_max3_f32 v189, v181, v185, v189                          // 000000009538: D1D300BD 06F773B5
	v_max3_f32 v190, v182, v186, v190                          // 000000009540: D1D300BE 06FB75B6
	v_max_f32_e32 v197, v188, v194                             // 000000009548: 178B85BC
	v_mul_f32_e64 v168, -s46, v197                             // 00000000954C: D10500A8 20038A2E
	v_mov_b32_e32 v169, v168                                   // 000000009554: 7F5203A8
	v_pk_fma_f32 v[4:5], v[4:5], s[46:47], v[168:169]          // 000000009558: D3B04004 1EA05D04
	v_pk_fma_f32 v[6:7], v[6:7], s[46:47], v[168:169]          // 000000009560: D3B04006 1EA05D06
	v_exp_f32_e32 v4, v4                                       // 000000009568: 7E084104
	v_exp_f32_e32 v5, v5                                       // 00000000956C: 7E0A4105
	v_exp_f32_e32 v6, v6                                       // 000000009570: 7E0C4106
	v_exp_f32_e32 v7, v7                                       // 000000009574: 7E0E4107
	v_pk_fma_f32 v[8:9], v[8:9], s[46:47], v[168:169]          // 000000009578: D3B04008 1EA05D08
	v_pk_fma_f32 v[10:11], v[10:11], s[46:47], v[168:169]      // 000000009580: D3B0400A 1EA05D0A
	v_exp_f32_e32 v8, v8                                       // 000000009588: 7E104108
	v_exp_f32_e32 v9, v9                                       // 00000000958C: 7E124109
	v_exp_f32_e32 v10, v10                                     // 000000009590: 7E14410A
	v_exp_f32_e32 v11, v11                                     // 000000009594: 7E16410B
	v_pk_fma_f32 v[12:13], v[12:13], s[46:47], v[168:169]      // 000000009598: D3B0400C 1EA05D0C
	v_pk_fma_f32 v[14:15], v[14:15], s[46:47], v[168:169]      // 0000000095A0: D3B0400E 1EA05D0E
	v_exp_f32_e32 v12, v12                                     // 0000000095A8: 7E18410C
	v_exp_f32_e32 v13, v13                                     // 0000000095AC: 7E1A410D
	v_exp_f32_e32 v14, v14                                     // 0000000095B0: 7E1C410E
	v_exp_f32_e32 v15, v15                                     // 0000000095B4: 7E1E410F
	v_pk_fma_f32 v[16:17], v[16:17], s[46:47], v[168:169]      // 0000000095B8: D3B04010 1EA05D10
	v_pk_fma_f32 v[18:19], v[18:19], s[46:47], v[168:169]      // 0000000095C0: D3B04012 1EA05D12
	v_exp_f32_e32 v16, v16                                     // 0000000095C8: 7E204110
	v_exp_f32_e32 v17, v17                                     // 0000000095CC: 7E224111
	v_exp_f32_e32 v18, v18                                     // 0000000095D0: 7E244112
	v_exp_f32_e32 v19, v19                                     // 0000000095D4: 7E264113
	v_max_f32_e32 v198, v189, v195                             // 0000000095D8: 178D87BD
	v_mul_f32_e64 v168, -s46, v198                             // 0000000095DC: D10500A8 20038C2E
	v_mov_b32_e32 v169, v168                                   // 0000000095E4: 7F5203A8
	v_pk_fma_f32 v[20:21], v[20:21], s[46:47], v[168:169]      // 0000000095E8: D3B04014 1EA05D14
	v_pk_fma_f32 v[22:23], v[22:23], s[46:47], v[168:169]      // 0000000095F0: D3B04016 1EA05D16
	v_exp_f32_e32 v20, v20                                     // 0000000095F8: 7E284114
	v_exp_f32_e32 v21, v21                                     // 0000000095FC: 7E2A4115
	v_exp_f32_e32 v22, v22                                     // 000000009600: 7E2C4116
	v_exp_f32_e32 v23, v23                                     // 000000009604: 7E2E4117
	v_pk_fma_f32 v[24:25], v[24:25], s[46:47], v[168:169]      // 000000009608: D3B04018 1EA05D18
	v_pk_fma_f32 v[26:27], v[26:27], s[46:47], v[168:169]      // 000000009610: D3B0401A 1EA05D1A
	v_exp_f32_e32 v24, v24                                     // 000000009618: 7E304118
	v_exp_f32_e32 v25, v25                                     // 00000000961C: 7E324119
	v_exp_f32_e32 v26, v26                                     // 000000009620: 7E34411A
	v_exp_f32_e32 v27, v27                                     // 000000009624: 7E36411B
	v_pk_fma_f32 v[28:29], v[28:29], s[46:47], v[168:169]      // 000000009628: D3B0401C 1EA05D1C
	v_pk_fma_f32 v[30:31], v[30:31], s[46:47], v[168:169]      // 000000009630: D3B0401E 1EA05D1E
	v_exp_f32_e32 v28, v28                                     // 000000009638: 7E38411C
	v_exp_f32_e32 v29, v29                                     // 00000000963C: 7E3A411D
	v_exp_f32_e32 v30, v30                                     // 000000009640: 7E3C411E
	v_exp_f32_e32 v31, v31                                     // 000000009644: 7E3E411F
	v_pk_fma_f32 v[32:33], v[32:33], s[46:47], v[168:169]      // 000000009648: D3B04020 1EA05D20
	v_pk_fma_f32 v[34:35], v[34:35], s[46:47], v[168:169]      // 000000009650: D3B04022 1EA05D22
	v_exp_f32_e32 v32, v32                                     // 000000009658: 7E404120
	v_exp_f32_e32 v33, v33                                     // 00000000965C: 7E424121
	v_exp_f32_e32 v34, v34                                     // 000000009660: 7E444122
	v_exp_f32_e32 v35, v35                                     // 000000009664: 7E464123
	v_max_f32_e32 v199, v190, v196                             // 000000009668: 178F89BE
	v_mul_f32_e64 v168, -s46, v199                             // 00000000966C: D10500A8 20038E2E
	v_mov_b32_e32 v169, v168                                   // 000000009674: 7F5203A8
	v_pk_fma_f32 v[36:37], v[36:37], s[46:47], v[168:169]      // 000000009678: D3B04024 1EA05D24
	v_pk_fma_f32 v[38:39], v[38:39], s[46:47], v[168:169]      // 000000009680: D3B04026 1EA05D26
	v_exp_f32_e32 v36, v36                                     // 000000009688: 7E484124
	v_exp_f32_e32 v37, v37                                     // 00000000968C: 7E4A4125
	v_exp_f32_e32 v38, v38                                     // 000000009690: 7E4C4126
	v_exp_f32_e32 v39, v39                                     // 000000009694: 7E4E4127
	v_pk_fma_f32 v[40:41], v[40:41], s[46:47], v[168:169]      // 000000009698: D3B04028 1EA05D28
	v_pk_fma_f32 v[42:43], v[42:43], s[46:47], v[168:169]      // 0000000096A0: D3B0402A 1EA05D2A
	v_exp_f32_e32 v40, v40                                     // 0000000096A8: 7E504128
	v_exp_f32_e32 v41, v41                                     // 0000000096AC: 7E524129
	v_exp_f32_e32 v42, v42                                     // 0000000096B0: 7E54412A
	v_exp_f32_e32 v43, v43                                     // 0000000096B4: 7E56412B
	v_mul_f32_e32 v52, v157, v4                                // 0000000096B8: 0A68099D
	v_mul_f32_e32 v53, v157, v5                                // 0000000096BC: 0A6A0B9D
	v_mul_f32_e32 v54, v157, v6                                // 0000000096C0: 0A6C0D9D
	v_mul_f32_e32 v55, v157, v7                                // 0000000096C4: 0A6E0F9D
	v_mul_f32_e32 v56, v157, v8                                // 0000000096C8: 0A70119D
	v_mul_f32_e32 v57, v157, v9                                // 0000000096CC: 0A72139D
	v_mul_f32_e32 v58, v157, v10                               // 0000000096D0: 0A74159D
	v_mul_f32_e32 v59, v157, v11                               // 0000000096D4: 0A76179D
	v_mul_f32_e32 v60, v157, v12                               // 0000000096D8: 0A78199D
	v_mul_f32_e32 v61, v157, v13                               // 0000000096DC: 0A7A1B9D
	v_mul_f32_e32 v62, v157, v14                               // 0000000096E0: 0A7C1D9D
	v_mul_f32_e32 v63, v157, v15                               // 0000000096E4: 0A7E1F9D
	v_mul_f32_e32 v64, v157, v16                               // 0000000096E8: 0A80219D
	v_mul_f32_e32 v65, v157, v17                               // 0000000096EC: 0A82239D
	v_mul_f32_e32 v66, v157, v18                               // 0000000096F0: 0A84259D
	v_mul_f32_e32 v67, v157, v19                               // 0000000096F4: 0A86279D
	v_mul_f32_e32 v68, v157, v20                               // 0000000096F8: 0A88299D
	v_mul_f32_e32 v69, v157, v21                               // 0000000096FC: 0A8A2B9D
	v_mul_f32_e32 v70, v157, v22                               // 000000009700: 0A8C2D9D
	v_mul_f32_e32 v71, v157, v23                               // 000000009704: 0A8E2F9D
	v_mul_f32_e32 v72, v157, v24                               // 000000009708: 0A90319D
	v_mul_f32_e32 v73, v157, v25                               // 00000000970C: 0A92339D
	v_mul_f32_e32 v74, v157, v26                               // 000000009710: 0A94359D
	v_mul_f32_e32 v75, v157, v27                               // 000000009714: 0A96379D
	v_mul_f32_e32 v76, v157, v28                               // 000000009718: 0A98399D
	v_mul_f32_e32 v77, v157, v29                               // 00000000971C: 0A9A3B9D
	v_mul_f32_e32 v78, v157, v30                               // 000000009720: 0A9C3D9D
	v_mul_f32_e32 v79, v157, v31                               // 000000009724: 0A9E3F9D
	v_mul_f32_e32 v80, v157, v32                               // 000000009728: 0AA0419D
	v_mul_f32_e32 v81, v157, v33                               // 00000000972C: 0AA2439D
	v_mul_f32_e32 v82, v157, v34                               // 000000009730: 0AA4459D
	v_mul_f32_e32 v83, v157, v35                               // 000000009734: 0AA6479D
	v_mul_f32_e32 v84, v157, v36                               // 000000009738: 0AA8499D
	v_mul_f32_e32 v85, v157, v37                               // 00000000973C: 0AAA4B9D
	v_mul_f32_e32 v86, v157, v38                               // 000000009740: 0AAC4D9D
	v_mul_f32_e32 v87, v157, v39                               // 000000009744: 0AAE4F9D
	v_mul_f32_e32 v88, v157, v40                               // 000000009748: 0AB0519D
	v_mul_f32_e32 v89, v157, v41                               // 00000000974C: 0AB2539D
	v_mul_f32_e32 v90, v157, v42                               // 000000009750: 0AB4559D
	v_mul_f32_e32 v91, v157, v43                               // 000000009754: 0AB6579D
	v_add_u32_e32 v168, s64, v222                              // 000000009758: 6951BC40
	v_add_u32_e32 v169, 0, v168                                // 00000000975C: 69535080
	v_cmp_lt_u32_e32 vcc, v169, v219                           // 000000009760: 7D93B7A9
	s_nop 0                                                    // 000000009764: BF800000
	v_cndmask_b32_e32 v52, 0, v52, vcc                         // 000000009768: 00686880
	v_add_u32_e32 v169, 1, v168                                // 00000000976C: 69535081
	v_cmp_lt_u32_e32 vcc, v169, v219                           // 000000009770: 7D93B7A9
	s_nop 0                                                    // 000000009774: BF800000
	v_cndmask_b32_e32 v53, 0, v53, vcc                         // 000000009778: 006A6A80
	v_add_u32_e32 v169, 2, v168                                // 00000000977C: 69535082
	v_cmp_lt_u32_e32 vcc, v169, v219                           // 000000009780: 7D93B7A9
	s_nop 0                                                    // 000000009784: BF800000
	v_cndmask_b32_e32 v54, 0, v54, vcc                         // 000000009788: 006C6C80
	v_add_u32_e32 v169, 3, v168                                // 00000000978C: 69535083
	v_cmp_lt_u32_e32 vcc, v169, v219                           // 000000009790: 7D93B7A9
	s_nop 0                                                    // 000000009794: BF800000
	v_cndmask_b32_e32 v55, 0, v55, vcc                         // 000000009798: 006E6E80
	v_add_u32_e32 v169, 64, v168                               // 00000000979C: 695350C0
	v_cmp_lt_u32_e32 vcc, v169, v219                           // 0000000097A0: 7D93B7A9
	s_nop 0                                                    // 0000000097A4: BF800000
	v_cndmask_b32_e32 v56, 0, v56, vcc                         // 0000000097A8: 00707080
	v_add_u32_e32 v169, 0x41, v168                             // 0000000097AC: 695350FF 00000041
	v_cmp_lt_u32_e32 vcc, v169, v219                           // 0000000097B4: 7D93B7A9
	s_nop 0                                                    // 0000000097B8: BF800000
	v_cndmask_b32_e32 v57, 0, v57, vcc                         // 0000000097BC: 00727280
	v_add_u32_e32 v169, 0x42, v168                             // 0000000097C0: 695350FF 00000042
	v_cmp_lt_u32_e32 vcc, v169, v219                           // 0000000097C8: 7D93B7A9
	s_nop 0                                                    // 0000000097CC: BF800000
	v_cndmask_b32_e32 v58, 0, v58, vcc                         // 0000000097D0: 00747480
	v_add_u32_e32 v169, 0x43, v168                             // 0000000097D4: 695350FF 00000043
	v_cmp_lt_u32_e32 vcc, v169, v219                           // 0000000097DC: 7D93B7A9
	s_nop 0                                                    // 0000000097E0: BF800000
	v_cndmask_b32_e32 v59, 0, v59, vcc                         // 0000000097E4: 00767680
	v_add_u32_e32 v169, 0x80, v168                             // 0000000097E8: 695350FF 00000080
	v_cmp_lt_u32_e32 vcc, v169, v219                           // 0000000097F0: 7D93B7A9
	s_nop 0                                                    // 0000000097F4: BF800000
	v_cndmask_b32_e32 v60, 0, v60, vcc                         // 0000000097F8: 00787880
	v_add_u32_e32 v169, 0x81, v168                             // 0000000097FC: 695350FF 00000081
	v_cmp_lt_u32_e32 vcc, v169, v219                           // 000000009804: 7D93B7A9
	s_nop 0                                                    // 000000009808: BF800000
	v_cndmask_b32_e32 v61, 0, v61, vcc                         // 00000000980C: 007A7A80
	v_add_u32_e32 v169, 0x82, v168                             // 000000009810: 695350FF 00000082
	v_cmp_lt_u32_e32 vcc, v169, v219                           // 000000009818: 7D93B7A9
	s_nop 0                                                    // 00000000981C: BF800000
	v_cndmask_b32_e32 v62, 0, v62, vcc                         // 000000009820: 007C7C80
	v_add_u32_e32 v169, 0x83, v168                             // 000000009824: 695350FF 00000083
	v_cmp_lt_u32_e32 vcc, v169, v219                           // 00000000982C: 7D93B7A9
	s_nop 0                                                    // 000000009830: BF800000
	v_cndmask_b32_e32 v63, 0, v63, vcc                         // 000000009834: 007E7E80
	v_add_u32_e32 v169, 0xc0, v168                             // 000000009838: 695350FF 000000C0
	v_cmp_lt_u32_e32 vcc, v169, v219                           // 000000009840: 7D93B7A9
	s_nop 0                                                    // 000000009844: BF800000
	v_cndmask_b32_e32 v64, 0, v64, vcc                         // 000000009848: 00808080
	v_add_u32_e32 v169, 0xc1, v168                             // 00000000984C: 695350FF 000000C1
	v_cmp_lt_u32_e32 vcc, v169, v219                           // 000000009854: 7D93B7A9
	s_nop 0                                                    // 000000009858: BF800000
	v_cndmask_b32_e32 v65, 0, v65, vcc                         // 00000000985C: 00828280
	v_add_u32_e32 v169, 0xc2, v168                             // 000000009860: 695350FF 000000C2
	v_cmp_lt_u32_e32 vcc, v169, v219                           // 000000009868: 7D93B7A9
	s_nop 0                                                    // 00000000986C: BF800000
	v_cndmask_b32_e32 v66, 0, v66, vcc                         // 000000009870: 00848480
	v_add_u32_e32 v169, 0xc3, v168                             // 000000009874: 695350FF 000000C3
	v_cmp_lt_u32_e32 vcc, v169, v219                           // 00000000987C: 7D93B7A9
	s_nop 0                                                    // 000000009880: BF800000
	v_cndmask_b32_e32 v67, 0, v67, vcc                         // 000000009884: 00868680
	v_add_u32_e32 v169, 0, v168                                // 000000009888: 69535080
	v_cmp_lt_u32_e32 vcc, v169, v220                           // 00000000988C: 7D93B9A9
	s_nop 0                                                    // 000000009890: BF800000
	v_cndmask_b32_e32 v68, 0, v68, vcc                         // 000000009894: 00888880
	v_add_u32_e32 v169, 1, v168                                // 000000009898: 69535081
	v_cmp_lt_u32_e32 vcc, v169, v220                           // 00000000989C: 7D93B9A9
	s_nop 0                                                    // 0000000098A0: BF800000
	v_cndmask_b32_e32 v69, 0, v69, vcc                         // 0000000098A4: 008A8A80
	v_add_u32_e32 v169, 2, v168                                // 0000000098A8: 69535082
	v_cmp_lt_u32_e32 vcc, v169, v220                           // 0000000098AC: 7D93B9A9
	s_nop 0                                                    // 0000000098B0: BF800000
	v_cndmask_b32_e32 v70, 0, v70, vcc                         // 0000000098B4: 008C8C80
	v_add_u32_e32 v169, 3, v168                                // 0000000098B8: 69535083
	v_cmp_lt_u32_e32 vcc, v169, v220                           // 0000000098BC: 7D93B9A9
	s_nop 0                                                    // 0000000098C0: BF800000
	v_cndmask_b32_e32 v71, 0, v71, vcc                         // 0000000098C4: 008E8E80
	v_add_u32_e32 v169, 64, v168                               // 0000000098C8: 695350C0
	v_cmp_lt_u32_e32 vcc, v169, v220                           // 0000000098CC: 7D93B9A9
	s_nop 0                                                    // 0000000098D0: BF800000
	v_cndmask_b32_e32 v72, 0, v72, vcc                         // 0000000098D4: 00909080
	v_add_u32_e32 v169, 0x41, v168                             // 0000000098D8: 695350FF 00000041
	v_cmp_lt_u32_e32 vcc, v169, v220                           // 0000000098E0: 7D93B9A9
	s_nop 0                                                    // 0000000098E4: BF800000
	v_cndmask_b32_e32 v73, 0, v73, vcc                         // 0000000098E8: 00929280
	v_add_u32_e32 v169, 0x42, v168                             // 0000000098EC: 695350FF 00000042
	v_cmp_lt_u32_e32 vcc, v169, v220                           // 0000000098F4: 7D93B9A9
	s_nop 0                                                    // 0000000098F8: BF800000
	v_cndmask_b32_e32 v74, 0, v74, vcc                         // 0000000098FC: 00949480
	v_add_u32_e32 v169, 0x43, v168                             // 000000009900: 695350FF 00000043
	v_cmp_lt_u32_e32 vcc, v169, v220                           // 000000009908: 7D93B9A9
	s_nop 0                                                    // 00000000990C: BF800000
	v_cndmask_b32_e32 v75, 0, v75, vcc                         // 000000009910: 00969680
	v_add_u32_e32 v169, 0x80, v168                             // 000000009914: 695350FF 00000080
	v_cmp_lt_u32_e32 vcc, v169, v220                           // 00000000991C: 7D93B9A9
	s_nop 0                                                    // 000000009920: BF800000
	v_cndmask_b32_e32 v76, 0, v76, vcc                         // 000000009924: 00989880
	v_add_u32_e32 v169, 0x81, v168                             // 000000009928: 695350FF 00000081
	v_cmp_lt_u32_e32 vcc, v169, v220                           // 000000009930: 7D93B9A9
	s_nop 0                                                    // 000000009934: BF800000
	v_cndmask_b32_e32 v77, 0, v77, vcc                         // 000000009938: 009A9A80
	v_add_u32_e32 v169, 0x82, v168                             // 00000000993C: 695350FF 00000082
	v_cmp_lt_u32_e32 vcc, v169, v220                           // 000000009944: 7D93B9A9
	s_nop 0                                                    // 000000009948: BF800000
	v_cndmask_b32_e32 v78, 0, v78, vcc                         // 00000000994C: 009C9C80
	v_add_u32_e32 v169, 0x83, v168                             // 000000009950: 695350FF 00000083
	v_cmp_lt_u32_e32 vcc, v169, v220                           // 000000009958: 7D93B9A9
	s_nop 0                                                    // 00000000995C: BF800000
	v_cndmask_b32_e32 v79, 0, v79, vcc                         // 000000009960: 009E9E80
	v_add_u32_e32 v169, 0xc0, v168                             // 000000009964: 695350FF 000000C0
	v_cmp_lt_u32_e32 vcc, v169, v220                           // 00000000996C: 7D93B9A9
	s_nop 0                                                    // 000000009970: BF800000
	v_cndmask_b32_e32 v80, 0, v80, vcc                         // 000000009974: 00A0A080
	v_add_u32_e32 v169, 0xc1, v168                             // 000000009978: 695350FF 000000C1
	v_cmp_lt_u32_e32 vcc, v169, v220                           // 000000009980: 7D93B9A9
	s_nop 0                                                    // 000000009984: BF800000
	v_cndmask_b32_e32 v81, 0, v81, vcc                         // 000000009988: 00A2A280
	v_add_u32_e32 v169, 0xc2, v168                             // 00000000998C: 695350FF 000000C2
	v_cmp_lt_u32_e32 vcc, v169, v220                           // 000000009994: 7D93B9A9
	s_nop 0                                                    // 000000009998: BF800000
	v_cndmask_b32_e32 v82, 0, v82, vcc                         // 00000000999C: 00A4A480
	v_add_u32_e32 v169, 0xc3, v168                             // 0000000099A0: 695350FF 000000C3
	v_cmp_lt_u32_e32 vcc, v169, v220                           // 0000000099A8: 7D93B9A9
	s_nop 0                                                    // 0000000099AC: BF800000
	v_cndmask_b32_e32 v83, 0, v83, vcc                         // 0000000099B0: 00A6A680
	v_add_u32_e32 v168, s64, v223                              // 0000000099B4: 6951BE40
	v_add_u32_e32 v169, 0, v168                                // 0000000099B8: 69535080
	v_cmp_lt_u32_e32 vcc, v169, v221                           // 0000000099BC: 7D93BBA9
	s_nop 0                                                    // 0000000099C0: BF800000
	v_cndmask_b32_e32 v84, 0, v84, vcc                         // 0000000099C4: 00A8A880
	v_add_u32_e32 v169, 1, v168                                // 0000000099C8: 69535081
	v_cmp_lt_u32_e32 vcc, v169, v221                           // 0000000099CC: 7D93BBA9
	s_nop 0                                                    // 0000000099D0: BF800000
	v_cndmask_b32_e32 v85, 0, v85, vcc                         // 0000000099D4: 00AAAA80
	v_add_u32_e32 v169, 2, v168                                // 0000000099D8: 69535082
	v_cmp_lt_u32_e32 vcc, v169, v221                           // 0000000099DC: 7D93BBA9
	s_nop 0                                                    // 0000000099E0: BF800000
	v_cndmask_b32_e32 v86, 0, v86, vcc                         // 0000000099E4: 00ACAC80
	v_add_u32_e32 v169, 3, v168                                // 0000000099E8: 69535083
	v_cmp_lt_u32_e32 vcc, v169, v221                           // 0000000099EC: 7D93BBA9
	s_nop 0                                                    // 0000000099F0: BF800000
	v_cndmask_b32_e32 v87, 0, v87, vcc                         // 0000000099F4: 00AEAE80
	v_add_u32_e32 v169, 64, v168                               // 0000000099F8: 695350C0
	v_cmp_lt_u32_e32 vcc, v169, v221                           // 0000000099FC: 7D93BBA9
	s_nop 0                                                    // 000000009A00: BF800000
	v_cndmask_b32_e32 v88, 0, v88, vcc                         // 000000009A04: 00B0B080
	v_add_u32_e32 v169, 0x41, v168                             // 000000009A08: 695350FF 00000041
	v_cmp_lt_u32_e32 vcc, v169, v221                           // 000000009A10: 7D93BBA9
	s_nop 0                                                    // 000000009A14: BF800000
	v_cndmask_b32_e32 v89, 0, v89, vcc                         // 000000009A18: 00B2B280
	v_add_u32_e32 v169, 0x42, v168                             // 000000009A1C: 695350FF 00000042
	v_cmp_lt_u32_e32 vcc, v169, v221                           // 000000009A24: 7D93BBA9
	s_nop 0                                                    // 000000009A28: BF800000
	v_cndmask_b32_e32 v90, 0, v90, vcc                         // 000000009A2C: 00B4B480
	v_add_u32_e32 v169, 0x43, v168                             // 000000009A30: 695350FF 00000043
	v_cmp_lt_u32_e32 vcc, v169, v221                           // 000000009A38: 7D93BBA9
	s_nop 0                                                    // 000000009A3C: BF800000
	v_cndmask_b32_e32 v91, 0, v91, vcc                         // 000000009A40: 00B6B680
	buffer_load_dword v154, v238, s[20:23], 0 offen            // 000000009A44: E0501000 80059AEE
	v_sub_f32_e32 v200, v194, v197                             // 000000009A4C: 05918BC2
	v_cmp_eq_u32_e64 s[98:99], v225, v194                      // 000000009A50: D0CA0062 000385E1
	v_cndmask_b32_e64 v200, v200, 0, s[98:99]                  // 000000009A58: D10000C8 018901C8
	v_mov_b32_e32 v194, v197                                   // 000000009A60: 7F8403C5
	v_mul_f32_e32 v200, s46, v200                              // 000000009A64: 0B91902E
	v_exp_f32_e32 v200, v200                                   // 000000009A68: 7F9041C8
	v_sub_f32_e32 v202, v195, v198                             // 000000009A6C: 05958DC3
	v_cmp_eq_u32_e64 s[98:99], v225, v195                      // 000000009A70: D0CA0062 000387E1
	v_cndmask_b32_e64 v202, v202, 0, s[98:99]                  // 000000009A78: D10000CA 018901CA
	v_mov_b32_e32 v195, v198                                   // 000000009A80: 7F8603C6
	v_mul_f32_e32 v202, s46, v202                              // 000000009A84: 0B95942E
	v_exp_f32_e32 v202, v202                                   // 000000009A88: 7F9441CA
	v_sub_f32_e32 v204, v196, v199                             // 000000009A8C: 05998FC4
	v_cmp_eq_u32_e64 s[98:99], v225, v196                      // 000000009A90: D0CA0062 000389E1
	v_cndmask_b32_e64 v204, v204, 0, s[98:99]                  // 000000009A98: D10000CC 018901CC
	v_mov_b32_e32 v196, v199                                   // 000000009AA0: 7F8803C7
	v_mul_f32_e32 v204, s46, v204                              // 000000009AA4: 0B99982E
	v_exp_f32_e32 v204, v204                                   // 000000009AA8: 7F9841CC
	v_mov_b32_e32 v201, v200                                   // 000000009AAC: 7F9203C8
	v_mov_b32_e32 v203, v202                                   // 000000009AB0: 7F9603CA
	v_mov_b32_e32 v205, v204                                   // 000000009AB4: 7F9A03CC
	s_waitcnt lgkmcnt(0)                                       // 000000009AB8: BF8CC07F
	s_barrier                                                  // 000000009ABC: BF8A0000
	buffer_load_dword v156, v239, s[24:27], 0 offen            // 000000009AC0: E0501000 80069CEF
	v_mul_f32_e32 v206, v200, v206                             // 000000009AC8: 0B9D9DC8
	v_mov_b32_e32 v207, 0                                      // 000000009ACC: 7F9E0280
	v_pk_add_f32 v[206:207], v[4:5], v[206:207]                // 000000009AD0: D3B240CE 18039D04
	v_pk_add_f32 v[206:207], v[6:7], v[206:207]                // 000000009AD8: D3B240CE 18039D06
	v_pk_add_f32 v[206:207], v[8:9], v[206:207]                // 000000009AE0: D3B240CE 18039D08
	v_pk_add_f32 v[206:207], v[10:11], v[206:207]              // 000000009AE8: D3B240CE 18039D0A
	v_pk_add_f32 v[206:207], v[12:13], v[206:207]              // 000000009AF0: D3B240CE 18039D0C
	v_pk_add_f32 v[206:207], v[14:15], v[206:207]              // 000000009AF8: D3B240CE 18039D0E
	v_pk_add_f32 v[206:207], v[16:17], v[206:207]              // 000000009B00: D3B240CE 18039D10
	v_pk_add_f32 v[206:207], v[18:19], v[206:207]              // 000000009B08: D3B240CE 18039D12
	v_add_f32_e32 v206, v207, v206                             // 000000009B10: 039D9DCF
	v_mul_f32_e32 v208, v202, v208                             // 000000009B14: 0BA1A1CA
	v_mov_b32_e32 v209, 0                                      // 000000009B18: 7FA20280
	v_pk_add_f32 v[208:209], v[20:21], v[208:209]              // 000000009B1C: D3B240D0 1803A114
	v_pk_add_f32 v[208:209], v[22:23], v[208:209]              // 000000009B24: D3B240D0 1803A116
	v_pk_add_f32 v[208:209], v[24:25], v[208:209]              // 000000009B2C: D3B240D0 1803A118
	v_pk_add_f32 v[208:209], v[26:27], v[208:209]              // 000000009B34: D3B240D0 1803A11A
	v_pk_add_f32 v[208:209], v[28:29], v[208:209]              // 000000009B3C: D3B240D0 1803A11C
	v_pk_add_f32 v[208:209], v[30:31], v[208:209]              // 000000009B44: D3B240D0 1803A11E
	v_pk_add_f32 v[208:209], v[32:33], v[208:209]              // 000000009B4C: D3B240D0 1803A120
	v_pk_add_f32 v[208:209], v[34:35], v[208:209]              // 000000009B54: D3B240D0 1803A122
	v_add_f32_e32 v208, v209, v208                             // 000000009B5C: 03A1A1D1
	v_mul_f32_e32 v210, v204, v210                             // 000000009B60: 0BA5A5CC
	v_mov_b32_e32 v211, 0                                      // 000000009B64: 7FA60280
	v_pk_add_f32 v[210:211], v[36:37], v[210:211]              // 000000009B68: D3B240D2 1803A524
	v_pk_add_f32 v[210:211], v[38:39], v[210:211]              // 000000009B70: D3B240D2 1803A526
	v_pk_add_f32 v[210:211], v[40:41], v[210:211]              // 000000009B78: D3B240D2 1803A528
	v_pk_add_f32 v[210:211], v[42:43], v[210:211]              // 000000009B80: D3B240D2 1803A52A
	v_add_f32_e32 v210, v211, v210                             // 000000009B88: 03A5A5D3
	s_waitcnt lgkmcnt(0)                                       // 000000009B8C: BF8CC07F
	v_sub_f32_e32 v188, v188, v194                             // 000000009B90: 057985BC
	v_sub_f32_e32 v189, v189, v195                             // 000000009B94: 057B87BD
	v_sub_f32_e32 v190, v190, v196                             // 000000009B98: 057D89BE
	v_mul_f32_e32 v188, s46, v188                              // 000000009B9C: 0B79782E
	v_mul_f32_e32 v189, s46, v189                              // 000000009BA0: 0B7B7A2E
	v_mul_f32_e32 v190, s46, v190                              // 000000009BA4: 0B7D7C2E
	v_exp_f32_e32 v188, v188                                   // 000000009BA8: 7F7841BC
	v_exp_f32_e32 v189, v189                                   // 000000009BAC: 7F7A41BD
	v_exp_f32_e32 v190, v190                                   // 000000009BB0: 7F7C41BE
	v_mul_f32_e32 v188, v157, v188                             // 000000009BB4: 0B79799D
	v_mul_f32_e32 v189, v157, v189                             // 000000009BB8: 0B7B7B9D
	v_mul_f32_e32 v190, v157, v190                             // 000000009BBC: 0B7D7D9D
	v_add_f32_e32 v188, 0x3089705f, v188                       // 000000009BC0: 037978FF 3089705F
	v_add_f32_e32 v189, 0x3089705f, v189                       // 000000009BC8: 037B7AFF 3089705F
	v_add_f32_e32 v190, 0x3089705f, v190                       // 000000009BD0: 037D7CFF 3089705F
	v_rcp_f32_e32 v188, v188                                   // 000000009BD8: 7F7845BC
	v_rcp_f32_e32 v189, v189                                   // 000000009BDC: 7F7A45BD
	v_rcp_f32_e32 v190, v190                                   // 000000009BE0: 7F7C45BE
	v_mul_f32_e32 v188, 0x43700000, v188                       // 000000009BE4: 0B7978FF 43700000
	v_mul_f32_e32 v189, 0x43700000, v189                       // 000000009BEC: 0B7B7AFF 43700000
	v_mul_f32_e32 v190, 0x43700000, v190                       // 000000009BF4: 0B7D7CFF 43700000
	v_mov_b32_e32 v192, v190                                   // 000000009BFC: 7F8003BE
	v_mov_b32_e32 v193, v190                                   // 000000009C00: 7F8203BE
	v_mov_b32_e32 v190, v189                                   // 000000009C04: 7F7C03BD
	v_mov_b32_e32 v191, v189                                   // 000000009C08: 7F7E03BD
	v_mov_b32_e32 v189, v188                                   // 000000009C0C: 7F7A03BC
	v_pk_mul_f32 v[4:5], v[188:189], v[52:53]                  // 000000009C10: D3B14004 180269BC
	v_pk_mul_f32 v[6:7], v[188:189], v[54:55]                  // 000000009C18: D3B14006 18026DBC
	v_pk_mul_f32 v[8:9], v[188:189], v[56:57]                  // 000000009C20: D3B14008 180271BC
	v_pk_mul_f32 v[10:11], v[188:189], v[58:59]                // 000000009C28: D3B1400A 180275BC
	v_pk_mul_f32 v[12:13], v[188:189], v[60:61]                // 000000009C30: D3B1400C 180279BC
	v_pk_mul_f32 v[14:15], v[188:189], v[62:63]                // 000000009C38: D3B1400E 18027DBC
	v_pk_mul_f32 v[16:17], v[188:189], v[64:65]                // 000000009C40: D3B14010 180281BC
	v_pk_mul_f32 v[18:19], v[188:189], v[66:67]                // 000000009C48: D3B14012 180285BC
	v_pk_mul_f32 v[20:21], v[190:191], v[68:69]                // 000000009C50: D3B14014 180289BE
	v_pk_mul_f32 v[22:23], v[190:191], v[70:71]                // 000000009C58: D3B14016 18028DBE
	v_pk_mul_f32 v[24:25], v[190:191], v[72:73]                // 000000009C60: D3B14018 180291BE
	v_pk_mul_f32 v[26:27], v[190:191], v[74:75]                // 000000009C68: D3B1401A 180295BE
	v_pk_mul_f32 v[28:29], v[190:191], v[76:77]                // 000000009C70: D3B1401C 180299BE
	v_pk_mul_f32 v[30:31], v[190:191], v[78:79]                // 000000009C78: D3B1401E 18029DBE
	v_pk_mul_f32 v[32:33], v[190:191], v[80:81]                // 000000009C80: D3B14020 1802A1BE
	v_pk_mul_f32 v[34:35], v[190:191], v[82:83]                // 000000009C88: D3B14022 1802A5BE
	v_pk_mul_f32 v[36:37], v[192:193], v[84:85]                // 000000009C90: D3B14024 1802A9C0
	v_pk_mul_f32 v[38:39], v[192:193], v[86:87]                // 000000009C98: D3B14026 1802ADC0
	v_pk_mul_f32 v[40:41], v[192:193], v[88:89]                // 000000009CA0: D3B14028 1802B1C0
	v_pk_mul_f32 v[42:43], v[192:193], v[90:91]                // 000000009CA8: D3B1402A 1802B5C0
	v_cvt_pk_fp8_f32 v4, v4, v5                                // 000000009CB0: D2A20004 00020B04
	v_cvt_pk_fp8_f32 v4, v6, v7 op_sel:[0,0,1]                 // 000000009CB8: D2A24004 00020F06
	v_cvt_pk_fp8_f32 v5, v8, v9                                // 000000009CC0: D2A20005 00021308
	v_cvt_pk_fp8_f32 v5, v10, v11 op_sel:[0,0,1]               // 000000009CC8: D2A24005 0002170A
	v_cvt_pk_fp8_f32 v6, v12, v13                              // 000000009CD0: D2A20006 00021B0C
	v_cvt_pk_fp8_f32 v6, v14, v15 op_sel:[0,0,1]               // 000000009CD8: D2A24006 00021F0E
	v_cvt_pk_fp8_f32 v7, v16, v17                              // 000000009CE0: D2A20007 00022310
	v_cvt_pk_fp8_f32 v7, v18, v19 op_sel:[0,0,1]               // 000000009CE8: D2A24007 00022712
	v_cvt_pk_fp8_f32 v8, v20, v21                              // 000000009CF0: D2A20008 00022B14
	v_cvt_pk_fp8_f32 v8, v22, v23 op_sel:[0,0,1]               // 000000009CF8: D2A24008 00022F16
	v_cvt_pk_fp8_f32 v9, v24, v25                              // 000000009D00: D2A20009 00023318
	v_cvt_pk_fp8_f32 v9, v26, v27 op_sel:[0,0,1]               // 000000009D08: D2A24009 0002371A
	v_cvt_pk_fp8_f32 v10, v28, v29                             // 000000009D10: D2A2000A 00023B1C
	v_cvt_pk_fp8_f32 v10, v30, v31 op_sel:[0,0,1]              // 000000009D18: D2A2400A 00023F1E
	v_cvt_pk_fp8_f32 v11, v32, v33                             // 000000009D20: D2A2000B 00024320
	v_cvt_pk_fp8_f32 v11, v34, v35 op_sel:[0,0,1]              // 000000009D28: D2A2400B 00024722
	v_cvt_pk_fp8_f32 v12, v36, v37                             // 000000009D30: D2A2000C 00024B24
	v_cvt_pk_fp8_f32 v12, v38, v39 op_sel:[0,0,1]              // 000000009D38: D2A2400C 00024F26
	v_cvt_pk_fp8_f32 v13, v40, v41                             // 000000009D40: D2A2000D 00025328
	v_cvt_pk_fp8_f32 v13, v42, v43 op_sel:[0,0,1]              // 000000009D48: D2A2400D 0002572A
	v_mov_b32_dpp v14, v12 row_shl:8 row_mask:0xf bank_mask:0xf bound_ctrl:1// 000000009D50: 7E1C02FA FF09080C
	v_and_b32_e32 v12, v12, v224                               // 000000009D58: 2619C10C
	v_mov_b32_dpp v15, v13 row_shl:8 row_mask:0xf bank_mask:0xf bound_ctrl:1// 000000009D5C: 7E1E02FA FF09080D
	v_and_b32_e32 v13, v13, v224                               // 000000009D64: 261BC10D
	ds_write_b32 v254, v4 offset:8192                          // 000000009D68: D81A2000 000004FE
	ds_write_b32 v254, v5 offset:9216                          // 000000009D70: D81A2400 000005FE
	ds_write_b32 v254, v6 offset:10240                         // 000000009D78: D81A2800 000006FE
	ds_write_b32 v254, v7 offset:11264                         // 000000009D80: D81A2C00 000007FE
	ds_write_b32 v254, v8 offset:12288                         // 000000009D88: D81A3000 000008FE
	ds_write_b32 v254, v9 offset:13312                         // 000000009D90: D81A3400 000009FE
	ds_write_b32 v254, v10 offset:14336                        // 000000009D98: D81A3800 00000AFE
	ds_write_b32 v254, v11 offset:15360                        // 000000009DA0: D81A3C00 00000BFE
	ds_write_b32 v254, v12 offset:16384                        // 000000009DA8: D81A4000 00000CFE
	ds_write_b32 v254, v13 offset:17408                        // 000000009DB0: D81A4400 00000DFE
	ds_write_b32 v254, v14 offset:18432                        // 000000009DB8: D81A4800 00000EFE
	ds_write_b32 v254, v15 offset:19456                        // 000000009DC0: D81A4C00 00000FFE
	v_rcp_f32_e32 v158, v188                                   // 000000009DC8: 7F3C45BC
	v_rcp_f32_e32 v160, v190                                   // 000000009DCC: 7F4045BE
	v_rcp_f32_e32 v162, v192                                   // 000000009DD0: 7F4445C0
	v_mov_b32_e32 v159, v158                                   // 000000009DD4: 7F3E039E
	v_mov_b32_e32 v161, v160                                   // 000000009DD8: 7F4203A0
	v_mov_b32_e32 v163, v162                                   // 000000009DDC: 7F4603A2
	v_pk_add_f32 v[124:125], v[124:125], v[100:101]            // 000000009DE0: D3B2407C 1802C97C
	v_pk_add_f32 v[126:127], v[126:127], v[102:103]            // 000000009DE8: D3B2407E 1802CD7E
	v_pk_add_f32 v[128:129], v[128:129], v[104:105]            // 000000009DF0: D3B24080 1802D180
	v_pk_add_f32 v[130:131], v[130:131], v[106:107]            // 000000009DF8: D3B24082 1802D582
	v_pk_add_f32 v[132:133], v[132:133], v[108:109]            // 000000009E00: D3B24084 1802D984
	v_pk_add_f32 v[134:135], v[134:135], v[110:111]            // 000000009E08: D3B24086 1802DD86
	v_pk_add_f32 v[136:137], v[136:137], v[112:113]            // 000000009E10: D3B24088 1802E188
	v_pk_add_f32 v[138:139], v[138:139], v[114:115]            // 000000009E18: D3B2408A 1802E58A
	v_pk_add_f32 v[140:141], v[140:141], v[116:117]            // 000000009E20: D3B2408C 1802E98C
	v_pk_add_f32 v[142:143], v[142:143], v[118:119]            // 000000009E28: D3B2408E 1802ED8E
	v_pk_add_f32 v[144:145], v[144:145], v[120:121]            // 000000009E30: D3B24090 1802F190
	v_pk_add_f32 v[146:147], v[146:147], v[122:123]            // 000000009E38: D3B24092 1802F592
	s_waitcnt lgkmcnt(0)                                       // 000000009E40: BF8CC07F
	s_barrier                                                  // 000000009E44: BF8A0000
	ds_read_b128 v[4:7], v255 offset:8192                      // 000000009E48: D9FE2000 040000FF
	ds_read_b128 v[8:11], v255 offset:9216                     // 000000009E50: D9FE2400 080000FF
	ds_read_b128 v[12:15], v255 offset:10240                   // 000000009E58: D9FE2800 0C0000FF
	ds_read_b128 v[16:19], v255 offset:11264                   // 000000009E60: D9FE2C00 100000FF
	ds_read_b128 v[20:23], v255 offset:12288                   // 000000009E68: D9FE3000 140000FF
	ds_read_b128 v[24:27], v255 offset:13312                   // 000000009E70: D9FE3400 180000FF
	ds_read_b128 v[28:31], v255 offset:14336                   // 000000009E78: D9FE3800 1C0000FF
	ds_read_b128 v[32:35], v255 offset:15360                   // 000000009E80: D9FE3C00 200000FF
	ds_read_b128 v[36:39], v255 offset:16384                   // 000000009E88: D9FE4000 240000FF
	ds_read_b128 v[40:43], v255 offset:17408                   // 000000009E90: D9FE4400 280000FF
	ds_read_b128 v[44:47], v255 offset:18432                   // 000000009E98: D9FE4800 2C0000FF
	ds_read_b128 v[48:51], v255 offset:19456                   // 000000009EA0: D9FE4C00 300000FF
	s_waitcnt vmcnt(10)                                        // 000000009EA8: BF8C0F7A
	v_lshrrev_b32_e32 v1, 4, v0                                // 000000009EAC: 20020084
	v_lshlrev_b32_e32 v1, 4, v1                                // 000000009EB0: 24020284
	v_add_u32_e32 v168, s64, v1                                // 000000009EB4: 69500240
	v_add_u32_e32 v168, 4, v168                                // 000000009EB8: 69515084
	v_sub_i32 v168, v168, s62                                  // 000000009EBC: D29D00A8 00007DA8
	s_mov_b32 s54, 0                                           // 000000009EC4: BEB60080
	v_add_i32 v169, s54, v168                                  // 000000009EC8: D29C00A9 00035036
	v_cmp_lt_i32_e64 vcc, v169, 4                              // 000000009ED0: D0C1006A 000109A9
	v_min_u32_e32 v169, 4, v169                                // 000000009ED8: 1D535284
	v_lshlrev_b32_e32 v169, 3, v169                            // 000000009EDC: 25535283
	v_lshrrev_b32_e64 v170, v169, -1                           // 000000009EE0: D11000AA 000183A9
	v_accvgpr_read_b32 v171, a120                              // 000000009EE8: D3D840AB 18000178
	v_cndmask_b32_e32 v171, 0, v171, vcc                       // 000000009EF0: 01575680
	v_and_b32_e32 v171, v171, v170                             // 000000009EF4: 275755AB
	v_accvgpr_write_b32 a120, v171                             // 000000009EF8: D3D94078 180001AB
	v_accvgpr_read_b32 v171, a136                              // 000000009F00: D3D840AB 18000188
	v_cndmask_b32_e32 v171, 0, v171, vcc                       // 000000009F08: 01575680
	v_and_b32_e32 v171, v171, v170                             // 000000009F0C: 275755AB
	v_accvgpr_write_b32 a136, v171                             // 000000009F10: D3D94088 180001AB
	s_mov_b32 s54, 4                                           // 000000009F18: BEB60084
	v_add_i32 v169, s54, v168                                  // 000000009F1C: D29C00A9 00035036
	v_cmp_lt_i32_e64 vcc, v169, 4                              // 000000009F24: D0C1006A 000109A9
	v_min_u32_e32 v169, 4, v169                                // 000000009F2C: 1D535284
	v_lshlrev_b32_e32 v169, 3, v169                            // 000000009F30: 25535283
	v_lshrrev_b32_e64 v170, v169, -1                           // 000000009F34: D11000AA 000183A9
	v_accvgpr_read_b32 v171, a121                              // 000000009F3C: D3D840AB 18000179
	v_cndmask_b32_e32 v171, 0, v171, vcc                       // 000000009F44: 01575680
	v_and_b32_e32 v171, v171, v170                             // 000000009F48: 275755AB
	v_accvgpr_write_b32 a121, v171                             // 000000009F4C: D3D94079 180001AB
	v_accvgpr_read_b32 v171, a137                              // 000000009F54: D3D840AB 18000189
	v_cndmask_b32_e32 v171, 0, v171, vcc                       // 000000009F5C: 01575680
	v_and_b32_e32 v171, v171, v170                             // 000000009F60: 275755AB
	v_accvgpr_write_b32 a137, v171                             // 000000009F64: D3D94089 180001AB
	s_mov_b32 s54, 8                                           // 000000009F6C: BEB60088
	v_add_i32 v169, s54, v168                                  // 000000009F70: D29C00A9 00035036
	v_cmp_lt_i32_e64 vcc, v169, 4                              // 000000009F78: D0C1006A 000109A9
	v_min_u32_e32 v169, 4, v169                                // 000000009F80: 1D535284
	v_lshlrev_b32_e32 v169, 3, v169                            // 000000009F84: 25535283
	v_lshrrev_b32_e64 v170, v169, -1                           // 000000009F88: D11000AA 000183A9
	v_accvgpr_read_b32 v171, a122                              // 000000009F90: D3D840AB 1800017A
	v_cndmask_b32_e32 v171, 0, v171, vcc                       // 000000009F98: 01575680
	v_and_b32_e32 v171, v171, v170                             // 000000009F9C: 275755AB
	v_accvgpr_write_b32 a122, v171                             // 000000009FA0: D3D9407A 180001AB
	v_accvgpr_read_b32 v171, a138                              // 000000009FA8: D3D840AB 1800018A
	v_cndmask_b32_e32 v171, 0, v171, vcc                       // 000000009FB0: 01575680
	v_and_b32_e32 v171, v171, v170                             // 000000009FB4: 275755AB
	v_accvgpr_write_b32 a138, v171                             // 000000009FB8: D3D9408A 180001AB
	s_mov_b32 s54, 12                                          // 000000009FC0: BEB6008C
	v_add_i32 v169, s54, v168                                  // 000000009FC4: D29C00A9 00035036
	v_cmp_lt_i32_e64 vcc, v169, 4                              // 000000009FCC: D0C1006A 000109A9
	v_min_u32_e32 v169, 4, v169                                // 000000009FD4: 1D535284
	v_lshlrev_b32_e32 v169, 3, v169                            // 000000009FD8: 25535283
	v_lshrrev_b32_e64 v170, v169, -1                           // 000000009FDC: D11000AA 000183A9
	v_accvgpr_read_b32 v171, a123                              // 000000009FE4: D3D840AB 1800017B
	v_cndmask_b32_e32 v171, 0, v171, vcc                       // 000000009FEC: 01575680
	v_and_b32_e32 v171, v171, v170                             // 000000009FF0: 275755AB
	v_accvgpr_write_b32 a123, v171                             // 000000009FF4: D3D9407B 180001AB
	v_accvgpr_read_b32 v171, a139                              // 000000009FFC: D3D840AB 1800018B
	v_cndmask_b32_e32 v171, 0, v171, vcc                       // 00000000A004: 01575680
	v_and_b32_e32 v171, v171, v170                             // 00000000A008: 275755AB
	v_accvgpr_write_b32 a139, v171                             // 00000000A00C: D3D9408B 180001AB
	s_mov_b32 s54, 64                                          // 00000000A014: BEB600C0
	v_add_i32 v169, s54, v168                                  // 00000000A018: D29C00A9 00035036
	v_cmp_lt_i32_e64 vcc, v169, 4                              // 00000000A020: D0C1006A 000109A9
	v_min_u32_e32 v169, 4, v169                                // 00000000A028: 1D535284
	v_lshlrev_b32_e32 v169, 3, v169                            // 00000000A02C: 25535283
	v_lshrrev_b32_e64 v170, v169, -1                           // 00000000A030: D11000AA 000183A9
	v_accvgpr_read_b32 v171, a124                              // 00000000A038: D3D840AB 1800017C
	v_cndmask_b32_e32 v171, 0, v171, vcc                       // 00000000A040: 01575680
	v_and_b32_e32 v171, v171, v170                             // 00000000A044: 275755AB
	v_accvgpr_write_b32 a124, v171                             // 00000000A048: D3D9407C 180001AB
	v_accvgpr_read_b32 v171, a140                              // 00000000A050: D3D840AB 1800018C
	v_cndmask_b32_e32 v171, 0, v171, vcc                       // 00000000A058: 01575680
	v_and_b32_e32 v171, v171, v170                             // 00000000A05C: 275755AB
	v_accvgpr_write_b32 a140, v171                             // 00000000A060: D3D9408C 180001AB
	s_mov_b32 s54, 0x44                                        // 00000000A068: BEB600FF 00000044
	v_add_i32 v169, s54, v168                                  // 00000000A070: D29C00A9 00035036
	v_cmp_lt_i32_e64 vcc, v169, 4                              // 00000000A078: D0C1006A 000109A9
	v_min_u32_e32 v169, 4, v169                                // 00000000A080: 1D535284
	v_lshlrev_b32_e32 v169, 3, v169                            // 00000000A084: 25535283
	v_lshrrev_b32_e64 v170, v169, -1                           // 00000000A088: D11000AA 000183A9
	v_accvgpr_read_b32 v171, a125                              // 00000000A090: D3D840AB 1800017D
	v_cndmask_b32_e32 v171, 0, v171, vcc                       // 00000000A098: 01575680
	v_and_b32_e32 v171, v171, v170                             // 00000000A09C: 275755AB
	v_accvgpr_write_b32 a125, v171                             // 00000000A0A0: D3D9407D 180001AB
	v_accvgpr_read_b32 v171, a141                              // 00000000A0A8: D3D840AB 1800018D
	v_cndmask_b32_e32 v171, 0, v171, vcc                       // 00000000A0B0: 01575680
	v_and_b32_e32 v171, v171, v170                             // 00000000A0B4: 275755AB
	v_accvgpr_write_b32 a141, v171                             // 00000000A0B8: D3D9408D 180001AB
	s_mov_b32 s54, 0x48                                        // 00000000A0C0: BEB600FF 00000048
	v_add_i32 v169, s54, v168                                  // 00000000A0C8: D29C00A9 00035036
	v_cmp_lt_i32_e64 vcc, v169, 4                              // 00000000A0D0: D0C1006A 000109A9
	v_min_u32_e32 v169, 4, v169                                // 00000000A0D8: 1D535284
	v_lshlrev_b32_e32 v169, 3, v169                            // 00000000A0DC: 25535283
	v_lshrrev_b32_e64 v170, v169, -1                           // 00000000A0E0: D11000AA 000183A9
	v_accvgpr_read_b32 v171, a126                              // 00000000A0E8: D3D840AB 1800017E
	v_cndmask_b32_e32 v171, 0, v171, vcc                       // 00000000A0F0: 01575680
	v_and_b32_e32 v171, v171, v170                             // 00000000A0F4: 275755AB
	v_accvgpr_write_b32 a126, v171                             // 00000000A0F8: D3D9407E 180001AB
	v_accvgpr_read_b32 v171, a142                              // 00000000A100: D3D840AB 1800018E
	v_cndmask_b32_e32 v171, 0, v171, vcc                       // 00000000A108: 01575680
	v_and_b32_e32 v171, v171, v170                             // 00000000A10C: 275755AB
	v_accvgpr_write_b32 a142, v171                             // 00000000A110: D3D9408E 180001AB
	s_mov_b32 s54, 0x4c                                        // 00000000A118: BEB600FF 0000004C
	v_add_i32 v169, s54, v168                                  // 00000000A120: D29C00A9 00035036
	v_cmp_lt_i32_e64 vcc, v169, 4                              // 00000000A128: D0C1006A 000109A9
	v_min_u32_e32 v169, 4, v169                                // 00000000A130: 1D535284
	v_lshlrev_b32_e32 v169, 3, v169                            // 00000000A134: 25535283
	v_lshrrev_b32_e64 v170, v169, -1                           // 00000000A138: D11000AA 000183A9
	v_accvgpr_read_b32 v171, a127                              // 00000000A140: D3D840AB 1800017F
	v_cndmask_b32_e32 v171, 0, v171, vcc                       // 00000000A148: 01575680
	v_and_b32_e32 v171, v171, v170                             // 00000000A14C: 275755AB
	v_accvgpr_write_b32 a127, v171                             // 00000000A150: D3D9407F 180001AB
	v_accvgpr_read_b32 v171, a143                              // 00000000A158: D3D840AB 1800018F
	v_cndmask_b32_e32 v171, 0, v171, vcc                       // 00000000A160: 01575680
	v_and_b32_e32 v171, v171, v170                             // 00000000A164: 275755AB
	v_accvgpr_write_b32 a143, v171                             // 00000000A168: D3D9408F 180001AB
	s_mov_b32 s54, 0x80                                        // 00000000A170: BEB600FF 00000080
	v_add_i32 v169, s54, v168                                  // 00000000A178: D29C00A9 00035036
	v_cmp_lt_i32_e64 vcc, v169, 4                              // 00000000A180: D0C1006A 000109A9
	v_min_u32_e32 v169, 4, v169                                // 00000000A188: 1D535284
	v_lshlrev_b32_e32 v169, 3, v169                            // 00000000A18C: 25535283
	v_lshrrev_b32_e64 v170, v169, -1                           // 00000000A190: D11000AA 000183A9
	v_accvgpr_read_b32 v171, a128                              // 00000000A198: D3D840AB 18000180
	v_cndmask_b32_e32 v171, 0, v171, vcc                       // 00000000A1A0: 01575680
	v_and_b32_e32 v171, v171, v170                             // 00000000A1A4: 275755AB
	v_accvgpr_write_b32 a128, v171                             // 00000000A1A8: D3D94080 180001AB
	v_accvgpr_read_b32 v171, a144                              // 00000000A1B0: D3D840AB 18000190
	v_cndmask_b32_e32 v171, 0, v171, vcc                       // 00000000A1B8: 01575680
	v_and_b32_e32 v171, v171, v170                             // 00000000A1BC: 275755AB
	v_accvgpr_write_b32 a144, v171                             // 00000000A1C0: D3D94090 180001AB
	s_mov_b32 s54, 0x84                                        // 00000000A1C8: BEB600FF 00000084
	v_add_i32 v169, s54, v168                                  // 00000000A1D0: D29C00A9 00035036
	v_cmp_lt_i32_e64 vcc, v169, 4                              // 00000000A1D8: D0C1006A 000109A9
	v_min_u32_e32 v169, 4, v169                                // 00000000A1E0: 1D535284
	v_lshlrev_b32_e32 v169, 3, v169                            // 00000000A1E4: 25535283
	v_lshrrev_b32_e64 v170, v169, -1                           // 00000000A1E8: D11000AA 000183A9
	v_accvgpr_read_b32 v171, a129                              // 00000000A1F0: D3D840AB 18000181
	v_cndmask_b32_e32 v171, 0, v171, vcc                       // 00000000A1F8: 01575680
	v_and_b32_e32 v171, v171, v170                             // 00000000A1FC: 275755AB
	v_accvgpr_write_b32 a129, v171                             // 00000000A200: D3D94081 180001AB
	v_accvgpr_read_b32 v171, a145                              // 00000000A208: D3D840AB 18000191
	v_cndmask_b32_e32 v171, 0, v171, vcc                       // 00000000A210: 01575680
	v_and_b32_e32 v171, v171, v170                             // 00000000A214: 275755AB
	v_accvgpr_write_b32 a145, v171                             // 00000000A218: D3D94091 180001AB
	s_mov_b32 s54, 0x88                                        // 00000000A220: BEB600FF 00000088
	v_add_i32 v169, s54, v168                                  // 00000000A228: D29C00A9 00035036
	v_cmp_lt_i32_e64 vcc, v169, 4                              // 00000000A230: D0C1006A 000109A9
	v_min_u32_e32 v169, 4, v169                                // 00000000A238: 1D535284
	v_lshlrev_b32_e32 v169, 3, v169                            // 00000000A23C: 25535283
	v_lshrrev_b32_e64 v170, v169, -1                           // 00000000A240: D11000AA 000183A9
	v_accvgpr_read_b32 v171, a130                              // 00000000A248: D3D840AB 18000182
	v_cndmask_b32_e32 v171, 0, v171, vcc                       // 00000000A250: 01575680
	v_and_b32_e32 v171, v171, v170                             // 00000000A254: 275755AB
	v_accvgpr_write_b32 a130, v171                             // 00000000A258: D3D94082 180001AB
	v_accvgpr_read_b32 v171, a146                              // 00000000A260: D3D840AB 18000192
	v_cndmask_b32_e32 v171, 0, v171, vcc                       // 00000000A268: 01575680
	v_and_b32_e32 v171, v171, v170                             // 00000000A26C: 275755AB
	v_accvgpr_write_b32 a146, v171                             // 00000000A270: D3D94092 180001AB
	s_mov_b32 s54, 0x8c                                        // 00000000A278: BEB600FF 0000008C
	v_add_i32 v169, s54, v168                                  // 00000000A280: D29C00A9 00035036
	v_cmp_lt_i32_e64 vcc, v169, 4                              // 00000000A288: D0C1006A 000109A9
	v_min_u32_e32 v169, 4, v169                                // 00000000A290: 1D535284
	v_lshlrev_b32_e32 v169, 3, v169                            // 00000000A294: 25535283
	v_lshrrev_b32_e64 v170, v169, -1                           // 00000000A298: D11000AA 000183A9
	v_accvgpr_read_b32 v171, a131                              // 00000000A2A0: D3D840AB 18000183
	v_cndmask_b32_e32 v171, 0, v171, vcc                       // 00000000A2A8: 01575680
	v_and_b32_e32 v171, v171, v170                             // 00000000A2AC: 275755AB
	v_accvgpr_write_b32 a131, v171                             // 00000000A2B0: D3D94083 180001AB
	v_accvgpr_read_b32 v171, a147                              // 00000000A2B8: D3D840AB 18000193
	v_cndmask_b32_e32 v171, 0, v171, vcc                       // 00000000A2C0: 01575680
	v_and_b32_e32 v171, v171, v170                             // 00000000A2C4: 275755AB
	v_accvgpr_write_b32 a147, v171                             // 00000000A2C8: D3D94093 180001AB
	s_mov_b32 s54, 0xc0                                        // 00000000A2D0: BEB600FF 000000C0
	v_add_i32 v169, s54, v168                                  // 00000000A2D8: D29C00A9 00035036
	v_cmp_lt_i32_e64 vcc, v169, 4                              // 00000000A2E0: D0C1006A 000109A9
	v_min_u32_e32 v169, 4, v169                                // 00000000A2E8: 1D535284
	v_lshlrev_b32_e32 v169, 3, v169                            // 00000000A2EC: 25535283
	v_lshrrev_b32_e64 v170, v169, -1                           // 00000000A2F0: D11000AA 000183A9
	v_accvgpr_read_b32 v171, a132                              // 00000000A2F8: D3D840AB 18000184
	v_cndmask_b32_e32 v171, 0, v171, vcc                       // 00000000A300: 01575680
	v_and_b32_e32 v171, v171, v170                             // 00000000A304: 275755AB
	v_accvgpr_write_b32 a132, v171                             // 00000000A308: D3D94084 180001AB
	v_accvgpr_read_b32 v171, a148                              // 00000000A310: D3D840AB 18000194
	v_cndmask_b32_e32 v171, 0, v171, vcc                       // 00000000A318: 01575680
	v_and_b32_e32 v171, v171, v170                             // 00000000A31C: 275755AB
	v_accvgpr_write_b32 a148, v171                             // 00000000A320: D3D94094 180001AB
	s_mov_b32 s54, 0xc4                                        // 00000000A328: BEB600FF 000000C4
	v_add_i32 v169, s54, v168                                  // 00000000A330: D29C00A9 00035036
	v_cmp_lt_i32_e64 vcc, v169, 4                              // 00000000A338: D0C1006A 000109A9
	v_min_u32_e32 v169, 4, v169                                // 00000000A340: 1D535284
	v_lshlrev_b32_e32 v169, 3, v169                            // 00000000A344: 25535283
	v_lshrrev_b32_e64 v170, v169, -1                           // 00000000A348: D11000AA 000183A9
	v_accvgpr_read_b32 v171, a133                              // 00000000A350: D3D840AB 18000185
	v_cndmask_b32_e32 v171, 0, v171, vcc                       // 00000000A358: 01575680
	v_and_b32_e32 v171, v171, v170                             // 00000000A35C: 275755AB
	v_accvgpr_write_b32 a133, v171                             // 00000000A360: D3D94085 180001AB
	v_accvgpr_read_b32 v171, a149                              // 00000000A368: D3D840AB 18000195
	v_cndmask_b32_e32 v171, 0, v171, vcc                       // 00000000A370: 01575680
	v_and_b32_e32 v171, v171, v170                             // 00000000A374: 275755AB
	v_accvgpr_write_b32 a149, v171                             // 00000000A378: D3D94095 180001AB
	s_mov_b32 s54, 0xc8                                        // 00000000A380: BEB600FF 000000C8
	v_add_i32 v169, s54, v168                                  // 00000000A388: D29C00A9 00035036
	v_cmp_lt_i32_e64 vcc, v169, 4                              // 00000000A390: D0C1006A 000109A9
	v_min_u32_e32 v169, 4, v169                                // 00000000A398: 1D535284
	v_lshlrev_b32_e32 v169, 3, v169                            // 00000000A39C: 25535283
	v_lshrrev_b32_e64 v170, v169, -1                           // 00000000A3A0: D11000AA 000183A9
	v_accvgpr_read_b32 v171, a134                              // 00000000A3A8: D3D840AB 18000186
	v_cndmask_b32_e32 v171, 0, v171, vcc                       // 00000000A3B0: 01575680
	v_and_b32_e32 v171, v171, v170                             // 00000000A3B4: 275755AB
	v_accvgpr_write_b32 a134, v171                             // 00000000A3B8: D3D94086 180001AB
	v_accvgpr_read_b32 v171, a150                              // 00000000A3C0: D3D840AB 18000196
	v_cndmask_b32_e32 v171, 0, v171, vcc                       // 00000000A3C8: 01575680
	v_and_b32_e32 v171, v171, v170                             // 00000000A3CC: 275755AB
	v_accvgpr_write_b32 a150, v171                             // 00000000A3D0: D3D94096 180001AB
	s_mov_b32 s54, 0xcc                                        // 00000000A3D8: BEB600FF 000000CC
	v_add_i32 v169, s54, v168                                  // 00000000A3E0: D29C00A9 00035036
	v_cmp_lt_i32_e64 vcc, v169, 4                              // 00000000A3E8: D0C1006A 000109A9
	v_min_u32_e32 v169, 4, v169                                // 00000000A3F0: 1D535284
	v_lshlrev_b32_e32 v169, 3, v169                            // 00000000A3F4: 25535283
	v_lshrrev_b32_e64 v170, v169, -1                           // 00000000A3F8: D11000AA 000183A9
	v_accvgpr_read_b32 v171, a135                              // 00000000A400: D3D840AB 18000187
	v_cndmask_b32_e32 v171, 0, v171, vcc                       // 00000000A408: 01575680
	v_and_b32_e32 v171, v171, v170                             // 00000000A40C: 275755AB
	v_accvgpr_write_b32 a135, v171                             // 00000000A410: D3D94087 180001AB
	v_accvgpr_read_b32 v171, a151                              // 00000000A418: D3D840AB 18000197
	v_cndmask_b32_e32 v171, 0, v171, vcc                       // 00000000A420: 01575680
	v_and_b32_e32 v171, v171, v170                             // 00000000A424: 275755AB
	v_accvgpr_write_b32 a151, v171                             // 00000000A428: D3D94097 180001AB
	s_waitcnt lgkmcnt(11)                                      // 00000000A430: BF8CCB7F
	v_mfma_f32_16x16x32_fp8_fp8 v[100:103], a[120:121], v[4:5], 0// 00000000A434: D3F30064 0A020978
	v_mfma_f32_16x16x32_fp8_fp8 v[104:107], a[136:137], v[4:5], 0// 00000000A43C: D3F30068 0A020988
	v_mfma_f32_16x16x32_fp8_fp8 v[100:103], a[122:123], v[6:7], v[100:103]// 00000000A444: D3F30064 0D920D7A
	buffer_load_dwordx4 a[88:91], v234, s[16:19], 0 offen      // 00000000A44C: E05C1000 808458EA
	v_mfma_f32_16x16x32_fp8_fp8 v[104:107], a[138:139], v[6:7], v[104:107]// 00000000A454: D3F30068 0DA20D8A
	s_waitcnt lgkmcnt(10)                                      // 00000000A45C: BF8CCA7F
	v_mfma_f32_16x16x32_fp8_fp8 v[100:103], a[124:125], v[8:9], v[100:103]// 00000000A460: D3F30064 0D92117C
	v_mfma_f32_16x16x32_fp8_fp8 v[104:107], a[140:141], v[8:9], v[104:107]// 00000000A468: D3F30068 0DA2118C
	v_mfma_f32_16x16x32_fp8_fp8 v[100:103], a[126:127], v[10:11], v[100:103]// 00000000A470: D3F30064 0D92157E
	buffer_load_dwordx4 a[92:95], v235, s[16:19], 0 offen      // 00000000A478: E05C1000 80845CEB
	v_mfma_f32_16x16x32_fp8_fp8 v[104:107], a[142:143], v[10:11], v[104:107]// 00000000A480: D3F30068 0DA2158E
	s_waitcnt lgkmcnt(9)                                       // 00000000A488: BF8CC97F
	v_mfma_f32_16x16x32_fp8_fp8 v[100:103], a[128:129], v[12:13], v[100:103]// 00000000A48C: D3F30064 0D921980
	v_mfma_f32_16x16x32_fp8_fp8 v[104:107], a[144:145], v[12:13], v[104:107]// 00000000A494: D3F30068 0DA21990
	v_mfma_f32_16x16x32_fp8_fp8 v[100:103], a[130:131], v[14:15], v[100:103]// 00000000A49C: D3F30064 0D921D82
	buffer_load_dwordx4 a[96:99], v236, s[16:19], 0 offen      // 00000000A4A4: E05C1000 808460EC
	v_mfma_f32_16x16x32_fp8_fp8 v[104:107], a[146:147], v[14:15], v[104:107]// 00000000A4AC: D3F30068 0DA21D92
	s_waitcnt lgkmcnt(8)                                       // 00000000A4B4: BF8CC87F
	v_mfma_f32_16x16x32_fp8_fp8 v[100:103], a[132:133], v[16:17], v[100:103]// 00000000A4B8: D3F30064 0D922184
	v_mfma_f32_16x16x32_fp8_fp8 v[104:107], a[148:149], v[16:17], v[104:107]// 00000000A4C0: D3F30068 0DA22194
	v_mfma_f32_16x16x32_fp8_fp8 v[100:103], a[134:135], v[18:19], v[100:103]// 00000000A4C8: D3F30064 0D922586
	buffer_load_dwordx4 a[100:103], v237, s[16:19], 0 offen    // 00000000A4D0: E05C1000 808464ED
	v_mfma_f32_16x16x32_fp8_fp8 v[104:107], a[150:151], v[18:19], v[104:107]// 00000000A4D8: D3F30068 0DA22596
	s_waitcnt lgkmcnt(7)                                       // 00000000A4E0: BF8CC77F
	v_mfma_f32_16x16x32_fp8_fp8 v[108:111], a[120:121], v[20:21], 0// 00000000A4E4: D3F3006C 0A022978
	v_mfma_f32_16x16x32_fp8_fp8 v[112:115], a[136:137], v[20:21], 0// 00000000A4EC: D3F30070 0A022988
	v_mfma_f32_16x16x32_fp8_fp8 v[108:111], a[122:123], v[22:23], v[108:111]// 00000000A4F4: D3F3006C 0DB22D7A
	buffer_load_dwordx4 a[104:107], v234, s[16:19], 0 offen offset:1024// 00000000A4FC: E05C1400 808468EA
	v_mfma_f32_16x16x32_fp8_fp8 v[112:115], a[138:139], v[22:23], v[112:115]// 00000000A504: D3F30070 0DC22D8A
	s_waitcnt lgkmcnt(6)                                       // 00000000A50C: BF8CC67F
	v_mfma_f32_16x16x32_fp8_fp8 v[108:111], a[124:125], v[24:25], v[108:111]// 00000000A510: D3F3006C 0DB2317C
	v_mfma_f32_16x16x32_fp8_fp8 v[112:115], a[140:141], v[24:25], v[112:115]// 00000000A518: D3F30070 0DC2318C
	v_mfma_f32_16x16x32_fp8_fp8 v[108:111], a[126:127], v[26:27], v[108:111]// 00000000A520: D3F3006C 0DB2357E
	buffer_load_dwordx4 a[108:111], v235, s[16:19], 0 offen offset:1024// 00000000A528: E05C1400 80846CEB
	v_mfma_f32_16x16x32_fp8_fp8 v[112:115], a[142:143], v[26:27], v[112:115]// 00000000A530: D3F30070 0DC2358E
	s_waitcnt lgkmcnt(5)                                       // 00000000A538: BF8CC57F
	v_mfma_f32_16x16x32_fp8_fp8 v[108:111], a[128:129], v[28:29], v[108:111]// 00000000A53C: D3F3006C 0DB23980
	v_mfma_f32_16x16x32_fp8_fp8 v[112:115], a[144:145], v[28:29], v[112:115]// 00000000A544: D3F30070 0DC23990
	v_mfma_f32_16x16x32_fp8_fp8 v[108:111], a[130:131], v[30:31], v[108:111]// 00000000A54C: D3F3006C 0DB23D82
	buffer_load_dwordx4 a[112:115], v236, s[16:19], 0 offen offset:1024// 00000000A554: E05C1400 808470EC
	v_mfma_f32_16x16x32_fp8_fp8 v[112:115], a[146:147], v[30:31], v[112:115]// 00000000A55C: D3F30070 0DC23D92
	s_waitcnt lgkmcnt(4)                                       // 00000000A564: BF8CC47F
	v_mfma_f32_16x16x32_fp8_fp8 v[108:111], a[132:133], v[32:33], v[108:111]// 00000000A568: D3F3006C 0DB24184
	v_mfma_f32_16x16x32_fp8_fp8 v[112:115], a[148:149], v[32:33], v[112:115]// 00000000A570: D3F30070 0DC24194
	v_mfma_f32_16x16x32_fp8_fp8 v[108:111], a[134:135], v[34:35], v[108:111]// 00000000A578: D3F3006C 0DB24586
	buffer_load_dwordx4 a[116:119], v237, s[16:19], 0 offen offset:1024// 00000000A580: E05C1400 808474ED
	v_mfma_f32_16x16x32_fp8_fp8 v[112:115], a[150:151], v[34:35], v[112:115]// 00000000A588: D3F30070 0DC24596
	s_waitcnt lgkmcnt(3)                                       // 00000000A590: BF8CC37F
	v_mfma_f32_16x16x32_fp8_fp8 v[116:119], a[120:121], v[36:37], 0// 00000000A594: D3F30074 0A024978
	v_mfma_f32_16x16x32_fp8_fp8 v[120:123], a[136:137], v[36:37], 0// 00000000A59C: D3F30078 0A024988
	v_mfma_f32_16x16x32_fp8_fp8 v[116:119], a[122:123], v[38:39], v[116:119]// 00000000A5A4: D3F30074 0DD24D7A
	v_mfma_f32_16x16x32_fp8_fp8 v[120:123], a[138:139], v[38:39], v[120:123]// 00000000A5AC: D3F30078 0DE24D8A
	s_waitcnt lgkmcnt(2)                                       // 00000000A5B4: BF8CC27F
	v_mfma_f32_16x16x32_fp8_fp8 v[116:119], a[124:125], v[40:41], v[116:119]// 00000000A5B8: D3F30074 0DD2517C
	v_mfma_f32_16x16x32_fp8_fp8 v[120:123], a[140:141], v[40:41], v[120:123]// 00000000A5C0: D3F30078 0DE2518C
	v_mfma_f32_16x16x32_fp8_fp8 v[116:119], a[126:127], v[42:43], v[116:119]// 00000000A5C8: D3F30074 0DD2557E
	v_mfma_f32_16x16x32_fp8_fp8 v[120:123], a[142:143], v[42:43], v[120:123]// 00000000A5D0: D3F30078 0DE2558E
	s_waitcnt lgkmcnt(1)                                       // 00000000A5D8: BF8CC17F
	v_mfma_f32_16x16x32_fp8_fp8 v[116:119], a[128:129], v[44:45], v[116:119]// 00000000A5DC: D3F30074 0DD25980
	v_mfma_f32_16x16x32_fp8_fp8 v[120:123], a[144:145], v[44:45], v[120:123]// 00000000A5E4: D3F30078 0DE25990
	v_mfma_f32_16x16x32_fp8_fp8 v[116:119], a[130:131], v[46:47], v[116:119]// 00000000A5EC: D3F30074 0DD25D82
	v_mfma_f32_16x16x32_fp8_fp8 v[120:123], a[146:147], v[46:47], v[120:123]// 00000000A5F4: D3F30078 0DE25D92
	s_waitcnt lgkmcnt(0)                                       // 00000000A5FC: BF8CC07F
	v_mfma_f32_16x16x32_fp8_fp8 v[116:119], a[132:133], v[48:49], v[116:119]// 00000000A600: D3F30074 0DD26184
	v_mfma_f32_16x16x32_fp8_fp8 v[120:123], a[148:149], v[48:49], v[120:123]// 00000000A608: D3F30078 0DE26194
	v_mfma_f32_16x16x32_fp8_fp8 v[116:119], a[134:135], v[50:51], v[116:119]// 00000000A610: D3F30074 0DD26586
	v_mfma_f32_16x16x32_fp8_fp8 v[120:123], a[150:151], v[50:51], v[120:123]// 00000000A618: D3F30078 0DE26596
	s_addk_i32 s64, 0x100                                      // 00000000A620: B7400100
	s_branch label_1288                                        // 00000000A624: BF82F27E

000000000000a628 <label_200A>:
	v_pk_mul_f32 v[124:125], v[200:201], v[124:125]            // 00000000A628: D3B1407C 1802F9C8
	v_pk_mul_f32 v[126:127], v[200:201], v[126:127]            // 00000000A630: D3B1407E 1802FDC8
	v_pk_mul_f32 v[128:129], v[200:201], v[128:129]            // 00000000A638: D3B14080 180301C8
	v_pk_mul_f32 v[130:131], v[200:201], v[130:131]            // 00000000A640: D3B14082 180305C8
	v_pk_mul_f32 v[132:133], v[202:203], v[132:133]            // 00000000A648: D3B14084 180309CA
	v_pk_mul_f32 v[134:135], v[202:203], v[134:135]            // 00000000A650: D3B14086 18030DCA
	v_pk_mul_f32 v[136:137], v[202:203], v[136:137]            // 00000000A658: D3B14088 180311CA
	v_pk_mul_f32 v[138:139], v[202:203], v[138:139]            // 00000000A660: D3B1408A 180315CA
	v_pk_mul_f32 v[140:141], v[204:205], v[140:141]            // 00000000A668: D3B1408C 180319CC
	v_pk_mul_f32 v[142:143], v[204:205], v[142:143]            // 00000000A670: D3B1408E 18031DCC
	v_pk_mul_f32 v[144:145], v[204:205], v[144:145]            // 00000000A678: D3B14090 180321CC
	v_pk_mul_f32 v[146:147], v[204:205], v[146:147]            // 00000000A680: D3B14092 180325CC
	v_add_f32_dpp v210, v210, v210 row_ror:8 row_mask:0xf bank_mask:0xf// 00000000A688: 03A5A4FA FF0128D2
	ds_bpermute_b32 v172, v212, v206                           // 00000000A690: D87E0000 AC00CED4
	ds_bpermute_b32 v173, v213, v206                           // 00000000A698: D87E0000 AD00CED5
	ds_bpermute_b32 v174, v214, v206                           // 00000000A6A0: D87E0000 AE00CED6
	ds_bpermute_b32 v175, v212, v208                           // 00000000A6A8: D87E0000 AF00D0D4
	ds_bpermute_b32 v176, v213, v208                           // 00000000A6B0: D87E0000 B000D0D5
	ds_bpermute_b32 v177, v214, v208                           // 00000000A6B8: D87E0000 B100D0D6
	ds_bpermute_b32 v178, v212, v210                           // 00000000A6C0: D87E0000 B200D2D4
	ds_bpermute_b32 v179, v213, v210                           // 00000000A6C8: D87E0000 B300D2D5
	ds_bpermute_b32 v180, v214, v210                           // 00000000A6D0: D87E0000 B400D2D6
	s_waitcnt lgkmcnt(0)                                       // 00000000A6D8: BF8CC07F
	v_add_f32_e32 v206, v172, v206                             // 00000000A6DC: 039D9DAC
	v_add_f32_e32 v206, v173, v206                             // 00000000A6E0: 039D9DAD
	v_add_f32_e32 v206, v174, v206                             // 00000000A6E4: 039D9DAE
	v_add_f32_e32 v207, v175, v208                             // 00000000A6E8: 039FA1AF
	v_add_f32_e32 v207, v176, v207                             // 00000000A6EC: 039F9FB0
	v_add_f32_e32 v207, v177, v207                             // 00000000A6F0: 039F9FB1
	v_add_f32_e32 v208, v178, v210                             // 00000000A6F4: 03A1A5B2
	v_add_f32_e32 v208, v179, v208                             // 00000000A6F8: 03A1A1B3
	v_add_f32_e32 v208, v180, v208                             // 00000000A6FC: 03A1A1B4
	ds_write_b128 v252, v[206:209]                             // 00000000A700: D9BE0000 0000CEFC
	v_pk_mul_f32 v[100:101], v[158:159], v[100:101]            // 00000000A708: D3B14064 1802C99E
	v_pk_mul_f32 v[102:103], v[158:159], v[102:103]            // 00000000A710: D3B14066 1802CD9E
	v_pk_mul_f32 v[104:105], v[158:159], v[104:105]            // 00000000A718: D3B14068 1802D19E
	v_pk_mul_f32 v[106:107], v[158:159], v[106:107]            // 00000000A720: D3B1406A 1802D59E
	v_pk_mul_f32 v[108:109], v[160:161], v[108:109]            // 00000000A728: D3B1406C 1802D9A0
	v_pk_mul_f32 v[110:111], v[160:161], v[110:111]            // 00000000A730: D3B1406E 1802DDA0
	v_pk_mul_f32 v[112:113], v[160:161], v[112:113]            // 00000000A738: D3B14070 1802E1A0
	v_pk_mul_f32 v[114:115], v[160:161], v[114:115]            // 00000000A740: D3B14072 1802E5A0
	v_pk_mul_f32 v[116:117], v[162:163], v[116:117]            // 00000000A748: D3B14074 1802E9A2
	v_pk_mul_f32 v[118:119], v[162:163], v[118:119]            // 00000000A750: D3B14076 1802EDA2
	v_pk_mul_f32 v[120:121], v[162:163], v[120:121]            // 00000000A758: D3B14078 1802F1A2
	v_pk_mul_f32 v[122:123], v[162:163], v[122:123]            // 00000000A760: D3B1407A 1802F5A2
	s_waitcnt lgkmcnt(0)                                       // 00000000A768: BF8CC07F
	s_barrier                                                  // 00000000A76C: BF8A0000
	ds_read_b128 v[172:175], v253                              // 00000000A770: D9FE0000 AC0000FD
	ds_read_b128 v[176:179], v253 offset:256                   // 00000000A778: D9FE0100 B00000FD
	ds_read_b128 v[180:183], v253 offset:512                   // 00000000A780: D9FE0200 B40000FD
	ds_read_b128 v[184:187], v253 offset:768                   // 00000000A788: D9FE0300 B80000FD
	v_pk_add_f32 v[124:125], v[124:125], v[100:101]            // 00000000A790: D3B2407C 1802C97C
	v_pk_add_f32 v[126:127], v[126:127], v[102:103]            // 00000000A798: D3B2407E 1802CD7E
	v_pk_add_f32 v[128:129], v[128:129], v[104:105]            // 00000000A7A0: D3B24080 1802D180
	v_pk_add_f32 v[130:131], v[130:131], v[106:107]            // 00000000A7A8: D3B24082 1802D582
	v_pk_add_f32 v[132:133], v[132:133], v[108:109]            // 00000000A7B0: D3B24084 1802D984
	v_pk_add_f32 v[134:135], v[134:135], v[110:111]            // 00000000A7B8: D3B24086 1802DD86
	v_pk_add_f32 v[136:137], v[136:137], v[112:113]            // 00000000A7C0: D3B24088 1802E188
	v_pk_add_f32 v[138:139], v[138:139], v[114:115]            // 00000000A7C8: D3B2408A 1802E58A
	v_pk_add_f32 v[140:141], v[140:141], v[116:117]            // 00000000A7D0: D3B2408C 1802E98C
	v_pk_add_f32 v[142:143], v[142:143], v[118:119]            // 00000000A7D8: D3B2408E 1802ED8E
	v_pk_add_f32 v[144:145], v[144:145], v[120:121]            // 00000000A7E0: D3B24090 1802F190
	v_pk_add_f32 v[146:147], v[146:147], v[122:123]            // 00000000A7E8: D3B24092 1802F592
	s_waitcnt lgkmcnt(0)                                       // 00000000A7F0: BF8CC07F
	v_mov_b64_e32 v[206:207], 0                                // 00000000A7F4: 7F9C7080
	v_mov_b32_e32 v208, 0                                      // 00000000A7F8: 7FA00280
	v_add_f32_e32 v206, v172, v206                             // 00000000A7FC: 039D9DAC
	v_add_f32_e32 v207, v173, v207                             // 00000000A800: 039F9FAD
	v_add_f32_e32 v208, v174, v208                             // 00000000A804: 03A1A1AE
	v_add_f32_e32 v206, v176, v206                             // 00000000A808: 039D9DB0
	v_add_f32_e32 v207, v177, v207                             // 00000000A80C: 039F9FB1
	v_add_f32_e32 v208, v178, v208                             // 00000000A810: 03A1A1B2
	v_add_f32_e32 v206, v180, v206                             // 00000000A814: 039D9DB4
	v_add_f32_e32 v207, v181, v207                             // 00000000A818: 039F9FB5
	v_add_f32_e32 v208, v182, v208                             // 00000000A81C: 03A1A1B6
	v_add_f32_e32 v206, v184, v206                             // 00000000A820: 039D9DB8
	v_add_f32_e32 v207, v185, v207                             // 00000000A824: 039F9FB9
	v_add_f32_e32 v208, v186, v208                             // 00000000A828: 03A1A1BA
	v_rcp_f32_e32 v172, v206                                   // 00000000A82C: 7F5845CE
	v_cmp_eq_u32_e64 s[54:55], 0, v206                         // 00000000A830: D0CA0036 00039C80
	s_nop 0                                                    // 00000000A838: BF800000
	v_cndmask_b32_e64 v172, v172, 0, s[54:55]                  // 00000000A83C: D10000AC 00D901AC
	v_rcp_f32_e32 v173, v207                                   // 00000000A844: 7F5A45CF
	v_cmp_eq_u32_e64 s[54:55], 0, v207                         // 00000000A848: D0CA0036 00039E80
	s_nop 0                                                    // 00000000A850: BF800000
	v_cndmask_b32_e64 v173, v173, 0, s[54:55]                  // 00000000A854: D10000AD 00D901AD
	v_rcp_f32_e32 v174, v208                                   // 00000000A85C: 7F5C45D0
	v_cmp_eq_u32_e64 s[54:55], 0, v208                         // 00000000A860: D0CA0036 0003A080
	s_nop 0                                                    // 00000000A868: BF800000
	v_cndmask_b32_e64 v174, v174, 0, s[54:55]                  // 00000000A86C: D10000AE 00D901AE
	v_mul_f32_e32 v124, v172, v124                             // 00000000A874: 0AF8F9AC
	v_mul_f32_e32 v125, v172, v125                             // 00000000A878: 0AFAFBAC
	v_mul_f32_e32 v126, v172, v126                             // 00000000A87C: 0AFCFDAC
	v_mul_f32_e32 v127, v172, v127                             // 00000000A880: 0AFEFFAC
	v_mul_f32_e32 v128, v172, v128                             // 00000000A884: 0B0101AC
	v_mul_f32_e32 v129, v172, v129                             // 00000000A888: 0B0303AC
	v_mul_f32_e32 v130, v172, v130                             // 00000000A88C: 0B0505AC
	v_mul_f32_e32 v131, v172, v131                             // 00000000A890: 0B0707AC
	v_mul_f32_e32 v132, v173, v132                             // 00000000A894: 0B0909AD
	v_mul_f32_e32 v133, v173, v133                             // 00000000A898: 0B0B0BAD
	v_mul_f32_e32 v134, v173, v134                             // 00000000A89C: 0B0D0DAD
	v_mul_f32_e32 v135, v173, v135                             // 00000000A8A0: 0B0F0FAD
	v_mul_f32_e32 v136, v173, v136                             // 00000000A8A4: 0B1111AD
	v_mul_f32_e32 v137, v173, v137                             // 00000000A8A8: 0B1313AD
	v_mul_f32_e32 v138, v173, v138                             // 00000000A8AC: 0B1515AD
	v_mul_f32_e32 v139, v173, v139                             // 00000000A8B0: 0B1717AD
	v_mul_f32_e32 v140, v174, v140                             // 00000000A8B4: 0B1919AE
	v_mul_f32_e32 v141, v174, v141                             // 00000000A8B8: 0B1B1BAE
	v_mul_f32_e32 v142, v174, v142                             // 00000000A8BC: 0B1D1DAE
	v_mul_f32_e32 v143, v174, v143                             // 00000000A8C0: 0B1F1FAE
	v_mul_f32_e32 v144, v174, v144                             // 00000000A8C4: 0B2121AE
	v_mul_f32_e32 v145, v174, v145                             // 00000000A8C8: 0B2323AE
	v_mul_f32_e32 v146, v174, v146                             // 00000000A8CC: 0B2525AE
	v_mul_f32_e32 v147, v174, v147                             // 00000000A8D0: 0B2727AE
	s_cmp_eq_i32 s73, -1                                       // 00000000A8D4: BF00C149
	s_cbranch_scc0 label_217D                                  // 00000000A8D8: BF8400C6
	v_cmp_u_f32_e64 s[98:99], v124, v124                       // 00000000A8DC: D0480062 0002F97C
	v_add3_u32 v215, v124, v218, 1                             // 00000000A8E4: D1FF00D7 0207B57C
	v_cndmask_b32_e64 v168, v215, v217, s[98:99]               // 00000000A8EC: D10000A8 018BB3D7
	v_cmp_u_f32_e64 s[98:99], v125, v125                       // 00000000A8F4: D0480062 0002FB7D
	v_add3_u32 v215, v125, v218, 1                             // 00000000A8FC: D1FF00D7 0207B57D
	v_cndmask_b32_e64 v169, v215, v217, s[98:99]               // 00000000A904: D10000A9 018BB3D7
	v_perm_b32 v124, v169, v168, s56                           // 00000000A90C: D1ED007C 00E351A9
	v_cmp_u_f32_e64 s[98:99], v126, v126                       // 00000000A914: D0480062 0002FD7E
	v_add3_u32 v215, v126, v218, 1                             // 00000000A91C: D1FF00D7 0207B57E
	v_cndmask_b32_e64 v168, v215, v217, s[98:99]               // 00000000A924: D10000A8 018BB3D7
	v_cmp_u_f32_e64 s[98:99], v127, v127                       // 00000000A92C: D0480062 0002FF7F
	v_add3_u32 v215, v127, v218, 1                             // 00000000A934: D1FF00D7 0207B57F
	v_cndmask_b32_e64 v169, v215, v217, s[98:99]               // 00000000A93C: D10000A9 018BB3D7
	v_perm_b32 v125, v169, v168, s56                           // 00000000A944: D1ED007D 00E351A9
	v_cmp_u_f32_e64 s[98:99], v128, v128                       // 00000000A94C: D0480062 00030180
	v_add3_u32 v215, v128, v218, 1                             // 00000000A954: D1FF00D7 0207B580
	v_cndmask_b32_e64 v168, v215, v217, s[98:99]               // 00000000A95C: D10000A8 018BB3D7
	v_cmp_u_f32_e64 s[98:99], v129, v129                       // 00000000A964: D0480062 00030381
	v_add3_u32 v215, v129, v218, 1                             // 00000000A96C: D1FF00D7 0207B581
	v_cndmask_b32_e64 v169, v215, v217, s[98:99]               // 00000000A974: D10000A9 018BB3D7
	v_perm_b32 v126, v169, v168, s56                           // 00000000A97C: D1ED007E 00E351A9
	v_cmp_u_f32_e64 s[98:99], v130, v130                       // 00000000A984: D0480062 00030582
	v_add3_u32 v215, v130, v218, 1                             // 00000000A98C: D1FF00D7 0207B582
	v_cndmask_b32_e64 v168, v215, v217, s[98:99]               // 00000000A994: D10000A8 018BB3D7
	v_cmp_u_f32_e64 s[98:99], v131, v131                       // 00000000A99C: D0480062 00030783
	v_add3_u32 v215, v131, v218, 1                             // 00000000A9A4: D1FF00D7 0207B583
	v_cndmask_b32_e64 v169, v215, v217, s[98:99]               // 00000000A9AC: D10000A9 018BB3D7
	v_perm_b32 v127, v169, v168, s56                           // 00000000A9B4: D1ED007F 00E351A9
	v_cmp_u_f32_e64 s[98:99], v132, v132                       // 00000000A9BC: D0480062 00030984
	v_add3_u32 v215, v132, v218, 1                             // 00000000A9C4: D1FF00D7 0207B584
	v_cndmask_b32_e64 v168, v215, v217, s[98:99]               // 00000000A9CC: D10000A8 018BB3D7
	v_cmp_u_f32_e64 s[98:99], v133, v133                       // 00000000A9D4: D0480062 00030B85
	v_add3_u32 v215, v133, v218, 1                             // 00000000A9DC: D1FF00D7 0207B585
	v_cndmask_b32_e64 v169, v215, v217, s[98:99]               // 00000000A9E4: D10000A9 018BB3D7
	v_perm_b32 v128, v169, v168, s56                           // 00000000A9EC: D1ED0080 00E351A9
	v_cmp_u_f32_e64 s[98:99], v134, v134                       // 00000000A9F4: D0480062 00030D86
	v_add3_u32 v215, v134, v218, 1                             // 00000000A9FC: D1FF00D7 0207B586
	v_cndmask_b32_e64 v168, v215, v217, s[98:99]               // 00000000AA04: D10000A8 018BB3D7
	v_cmp_u_f32_e64 s[98:99], v135, v135                       // 00000000AA0C: D0480062 00030F87
	v_add3_u32 v215, v135, v218, 1                             // 00000000AA14: D1FF00D7 0207B587
	v_cndmask_b32_e64 v169, v215, v217, s[98:99]               // 00000000AA1C: D10000A9 018BB3D7
	v_perm_b32 v129, v169, v168, s56                           // 00000000AA24: D1ED0081 00E351A9
	v_cmp_u_f32_e64 s[98:99], v136, v136                       // 00000000AA2C: D0480062 00031188
	v_add3_u32 v215, v136, v218, 1                             // 00000000AA34: D1FF00D7 0207B588
	v_cndmask_b32_e64 v168, v215, v217, s[98:99]               // 00000000AA3C: D10000A8 018BB3D7
	v_cmp_u_f32_e64 s[98:99], v137, v137                       // 00000000AA44: D0480062 00031389
	v_add3_u32 v215, v137, v218, 1                             // 00000000AA4C: D1FF00D7 0207B589
	v_cndmask_b32_e64 v169, v215, v217, s[98:99]               // 00000000AA54: D10000A9 018BB3D7
	v_perm_b32 v130, v169, v168, s56                           // 00000000AA5C: D1ED0082 00E351A9
	v_cmp_u_f32_e64 s[98:99], v138, v138                       // 00000000AA64: D0480062 0003158A
	v_add3_u32 v215, v138, v218, 1                             // 00000000AA6C: D1FF00D7 0207B58A
	v_cndmask_b32_e64 v168, v215, v217, s[98:99]               // 00000000AA74: D10000A8 018BB3D7
	v_cmp_u_f32_e64 s[98:99], v139, v139                       // 00000000AA7C: D0480062 0003178B
	v_add3_u32 v215, v139, v218, 1                             // 00000000AA84: D1FF00D7 0207B58B
	v_cndmask_b32_e64 v169, v215, v217, s[98:99]               // 00000000AA8C: D10000A9 018BB3D7
	v_perm_b32 v131, v169, v168, s56                           // 00000000AA94: D1ED0083 00E351A9
	v_cmp_u_f32_e64 s[98:99], v140, v140                       // 00000000AA9C: D0480062 0003198C
	v_add3_u32 v215, v140, v218, 1                             // 00000000AAA4: D1FF00D7 0207B58C
	v_cndmask_b32_e64 v168, v215, v217, s[98:99]               // 00000000AAAC: D10000A8 018BB3D7
	v_cmp_u_f32_e64 s[98:99], v141, v141                       // 00000000AAB4: D0480062 00031B8D
	v_add3_u32 v215, v141, v218, 1                             // 00000000AABC: D1FF00D7 0207B58D
	v_cndmask_b32_e64 v169, v215, v217, s[98:99]               // 00000000AAC4: D10000A9 018BB3D7
	v_perm_b32 v132, v169, v168, s56                           // 00000000AACC: D1ED0084 00E351A9
	v_cmp_u_f32_e64 s[98:99], v142, v142                       // 00000000AAD4: D0480062 00031D8E
	v_add3_u32 v215, v142, v218, 1                             // 00000000AADC: D1FF00D7 0207B58E
	v_cndmask_b32_e64 v168, v215, v217, s[98:99]               // 00000000AAE4: D10000A8 018BB3D7
	v_cmp_u_f32_e64 s[98:99], v143, v143                       // 00000000AAEC: D0480062 00031F8F
	v_add3_u32 v215, v143, v218, 1                             // 00000000AAF4: D1FF00D7 0207B58F
	v_cndmask_b32_e64 v169, v215, v217, s[98:99]               // 00000000AAFC: D10000A9 018BB3D7
	v_perm_b32 v133, v169, v168, s56                           // 00000000AB04: D1ED0085 00E351A9
	v_cmp_u_f32_e64 s[98:99], v144, v144                       // 00000000AB0C: D0480062 00032190
	v_add3_u32 v215, v144, v218, 1                             // 00000000AB14: D1FF00D7 0207B590
	v_cndmask_b32_e64 v168, v215, v217, s[98:99]               // 00000000AB1C: D10000A8 018BB3D7
	v_cmp_u_f32_e64 s[98:99], v145, v145                       // 00000000AB24: D0480062 00032391
	v_add3_u32 v215, v145, v218, 1                             // 00000000AB2C: D1FF00D7 0207B591
	v_cndmask_b32_e64 v169, v215, v217, s[98:99]               // 00000000AB34: D10000A9 018BB3D7
	v_perm_b32 v134, v169, v168, s56                           // 00000000AB3C: D1ED0086 00E351A9
	v_cmp_u_f32_e64 s[98:99], v146, v146                       // 00000000AB44: D0480062 00032592
	v_add3_u32 v215, v146, v218, 1                             // 00000000AB4C: D1FF00D7 0207B592
	v_cndmask_b32_e64 v168, v215, v217, s[98:99]               // 00000000AB54: D10000A8 018BB3D7
	v_cmp_u_f32_e64 s[98:99], v147, v147                       // 00000000AB5C: D0480062 00032793
	v_add3_u32 v215, v147, v218, 1                             // 00000000AB64: D1FF00D7 0207B593
	v_cndmask_b32_e64 v169, v215, v217, s[98:99]               // 00000000AB6C: D10000A9 018BB3D7
	v_perm_b32 v135, v169, v168, s56                           // 00000000AB74: D1ED0087 00E351A9
	ds_write_b64 v250, v[124:125] offset:8192                  // 00000000AB7C: D89A2000 00007CFA
	ds_write_b64 v250, v[126:127] offset:10496                 // 00000000AB84: D89A2900 00007EFA
	ds_write_b64 v250, v[128:129] offset:12800                 // 00000000AB8C: D89A3200 000080FA
	ds_write_b64 v250, v[130:131] offset:15104                 // 00000000AB94: D89A3B00 000082FA
	ds_write_b64 v250, v[132:133] offset:17408                 // 00000000AB9C: D89A4400 000084FA
	ds_write_b64 v250, v[134:135] offset:19712                 // 00000000ABA4: D89A4D00 000086FA
	s_waitcnt lgkmcnt(0)                                       // 00000000ABAC: BF8CC07F
	s_barrier                                                  // 00000000ABB0: BF8A0000
	ds_read_b128 v[124:127], v251 offset:8192                  // 00000000ABB4: D9FE2000 7C0000FB
	ds_read_b128 v[128:131], v251 offset:12800                 // 00000000ABBC: D9FE3200 800000FB
	ds_read_b128 v[132:135], v251 offset:17408                 // 00000000ABC4: D9FE4400 840000FB
	s_waitcnt lgkmcnt(2)                                       // 00000000ABCC: BF8CC27F
	buffer_store_dwordx4 v[124:127], v229, s[4:7], 0 offen     // 00000000ABD0: E07C1000 80017CE5
	s_waitcnt lgkmcnt(1)                                       // 00000000ABD8: BF8CC17F
	buffer_store_dwordx4 v[128:131], v230, s[4:7], 0 offen     // 00000000ABDC: E07C1000 800180E6
	s_waitcnt lgkmcnt(0)                                       // 00000000ABE4: BF8CC07F
	buffer_store_dwordx4 v[132:135], v231, s[4:7], 0 offen     // 00000000ABE8: E07C1000 800184E7
	s_branch label_21A9                                        // 00000000ABF0: BF82002C

000000000000abf4 <label_217D>:
	v_rcp_f32_e32 v171, 0x3fb8aa3b                             // 00000000ABF4: 7F5644FF 3FB8AA3B
	v_log_f32_e32 v168, v206                                   // 00000000ABFC: 7F5043CE
	v_mul_f32_e64 v169, v194, s46                              // 00000000AC00: D10500A9 00005DC2
	v_add_f32_e32 v1, v168, v169                               // 00000000AC08: 020353A8
	v_mul_f32_e32 v1, v1, v171                                 // 00000000AC0C: 0A035701
	buffer_store_dword v1, v240, s[32:35], 0 offen             // 00000000AC10: E0701000 800801F0
	v_log_f32_e32 v168, v207                                   // 00000000AC18: 7F5043CF
	v_mul_f32_e64 v169, v195, s46                              // 00000000AC1C: D10500A9 00005DC3
	v_add_f32_e32 v2, v168, v169                               // 00000000AC24: 020553A8
	v_mul_f32_e32 v2, v2, v171                                 // 00000000AC28: 0A055702
	buffer_store_dword v2, v241, s[32:35], 0 offen             // 00000000AC2C: E0701000 800802F1
	v_log_f32_e32 v168, v208                                   // 00000000AC34: 7F5043D0
	v_mul_f32_e64 v169, v196, s46                              // 00000000AC38: D10500A9 00005DC4
	v_add_f32_e32 v3, v168, v169                               // 00000000AC40: 020753A8
	v_mul_f32_e32 v3, v3, v171                                 // 00000000AC44: 0A075703
	buffer_store_dword v3, v242, s[32:35], 0 offen             // 00000000AC48: E0701000 800803F2
	v_add_u32_e32 v168, 0, v243                                // 00000000AC50: 6951E680
	buffer_store_dwordx4 v[124:127], v168, s[28:31], 0 offen   // 00000000AC54: E07C1000 80077CA8
	v_add_u32_e32 v168, 0x100, v243                            // 00000000AC5C: 6951E6FF 00000100
	buffer_store_dwordx4 v[128:131], v168, s[28:31], 0 offen   // 00000000AC64: E07C1000 800780A8
	v_add_u32_e32 v168, 0, v244                                // 00000000AC6C: 6951E880
	buffer_store_dwordx4 v[132:135], v168, s[28:31], 0 offen   // 00000000AC70: E07C1000 800784A8
	v_add_u32_e32 v168, 0x100, v244                            // 00000000AC78: 6951E8FF 00000100
	buffer_store_dwordx4 v[136:139], v168, s[28:31], 0 offen   // 00000000AC80: E07C1000 800788A8
	v_add_u32_e32 v168, 0, v245                                // 00000000AC88: 6951EA80
	buffer_store_dwordx4 v[140:143], v168, s[28:31], 0 offen   // 00000000AC8C: E07C1000 80078CA8
	v_add_u32_e32 v168, 0x100, v245                            // 00000000AC94: 6951EAFF 00000100
	buffer_store_dwordx4 v[144:147], v168, s[28:31], 0 offen   // 00000000AC9C: E07C1000 800790A8

000000000000aca4 <label_21A9>:
	s_addk_i32 s80, 0x1                                        // 00000000ACA4: B7500001
	s_branch label_0213                                        // 00000000ACA8: BF82E068

000000000000acac <label_21AB>:
	s_waitcnt vmcnt(0) expcnt(0) lgkmcnt(0)                    // 00000000ACAC: BF8C0000
	s_endpgm                                                   // 00000000ACB0: BF810000
